;; amdgpu-corpus repo=ROCm/aiter kind=harvested arch=n/a opt=n/a

/root/src/amdgpu-assembly/repos/ROCm__aiter/hsa/gfx950/fmha_v3_bwd/bwd_hd192_128_bf16_a16_pssk.co:	file format elf64-amdgpu

Disassembly of section .text:

0000000000004000 <_ZN5aiter32fmha_bwd_hd192_128_bf16_a16_psskE>:
	s_and_b32 s1, s1, 0xffff                                   // 000000004000: 8601FF01 0000FFFF
	s_load_dwordx2 s[32:33], s[0:1], 0x0                       // 000000004008: C0060800 00000000
	s_load_dwordx2 s[36:37], s[0:1], 0x10                      // 000000004010: C0060900 00000010
	s_load_dwordx2 s[40:41], s[0:1], 0x20                      // 000000004018: C0060A00 00000020
	s_load_dwordx2 s[8:9], s[0:1], 0x30                        // 000000004020: C0060200 00000030
	s_load_dwordx2 s[12:13], s[0:1], 0x40                      // 000000004028: C0060300 00000040
	s_load_dwordx2 s[16:17], s[0:1], 0x50                      // 000000004030: C0060400 00000050
	s_load_dwordx2 s[20:21], s[0:1], 0x60                      // 000000004038: C0060500 00000060
	s_load_dwordx2 s[24:25], s[0:1], 0x70                      // 000000004040: C0060600 00000070
	s_load_dwordx2 s[28:29], s[0:1], 0x80                      // 000000004048: C0060700 00000080
	s_load_dword s47, s[0:1], 0x90                             // 000000004050: C0020BC0 00000090
	s_load_dword s48, s[0:1], 0xa0                             // 000000004058: C0020C00 000000A0
	s_load_dword s49, s[0:1], 0xb0                             // 000000004060: C0020C40 000000B0
	s_load_dword s74, s[0:1], 0xd0                             // 000000004068: C0021280 000000D0
	s_load_dword s75, s[0:1], 0xe0                             // 000000004070: C00212C0 000000E0
	s_load_dword s5, s[0:1], 0xf0                              // 000000004078: C0020140 000000F0
	s_load_dword s44, s[0:1], 0x100                            // 000000004080: C0020B00 00000100
	s_load_dword s76, s[0:1], 0x110                            // 000000004088: C0021300 00000110
	s_load_dword s77, s[0:1], 0x120                            // 000000004090: C0021340 00000120
	s_load_dword s6, s[0:1], 0x130                             // 000000004098: C0020180 00000130
	s_load_dword s52, s[0:1], 0x140                            // 0000000040A0: C0020D00 00000140
	s_load_dword s50, s[0:1], 0x150                            // 0000000040A8: C0020C80 00000150
	s_load_dword s63, s[0:1], 0x160                            // 0000000040B0: C0020FC0 00000160
	s_load_dword s64, s[0:1], 0x180                            // 0000000040B8: C0021000 00000180
	s_load_dword s78, s[0:1], 0x190                            // 0000000040C0: C0021380 00000190
	s_load_dword s79, s[0:1], 0x1a0                            // 0000000040C8: C00213C0 000001A0
	s_load_dword s7, s[0:1], 0x1b0                             // 0000000040D0: C00201C0 000001B0
	s_load_dword s80, s[0:1], 0x1c0                            // 0000000040D8: C0021400 000001C0
	s_load_dword s81, s[0:1], 0x1d0                            // 0000000040E0: C0021440 000001D0
	s_load_dword s51, s[0:1], 0x1e0                            // 0000000040E8: C0020CC0 000001E0
	s_load_dword s82, s[0:1], 0x1f0                            // 0000000040F0: C0021480 000001F0
	s_load_dword s83, s[0:1], 0x200                            // 0000000040F8: C00214C0 00000200
	s_load_dword s84, s[0:1], 0x210                            // 000000004100: C0021500 00000210
	s_load_dword s85, s[0:1], 0x220                            // 000000004108: C0021540 00000220
	s_load_dword s53, s[0:1], 0x230                            // 000000004110: C0020D40 00000230
	v_lshrrev_b32_e32 v1, 10, v0                               // 000000004118: 2002008A
	v_lshrrev_b32_e32 v2, 10, v1                               // 00000000411C: 2004028A
	v_and_b32_e32 v2, 0x3ff, v2                                // 000000004120: 260404FF 000003FF
	v_and_b32_e32 v1, 0x3ff, v1                                // 000000004128: 260202FF 000003FF
	v_and_b32_e32 v0, 0x3ff, v0                                // 000000004130: 260000FF 000003FF
	v_lshrrev_b32_e32 v3, 6, v0                                // 000000004138: 20060086
	v_and_b32_e32 v0, 63, v0                                   // 00000000413C: 260000BF
	s_mov_b32 s2, s2                                           // 000000004140: BE820002
	s_mov_b32 s3, s3                                           // 000000004144: BE830003
	s_mov_b32 s4, s4                                           // 000000004148: BE840004
	v_readfirstlane_b32 s46, v3                                // 00000000414C: 7E5C0503
	s_waitcnt lgkmcnt(0)                                       // 000000004150: BF8CC07F
	s_mov_b32 s11, 0x20000                                     // 000000004154: BE8B00FF 00020000
	s_mov_b32 s15, 0x20000                                     // 00000000415C: BE8F00FF 00020000
	s_mov_b32 s19, 0x20000                                     // 000000004164: BE9300FF 00020000
	s_mov_b32 s23, 0x20000                                     // 00000000416C: BE9700FF 00020000
	s_mov_b32 s27, 0x20000                                     // 000000004174: BE9B00FF 00020000
	s_mov_b32 s31, 0x20000                                     // 00000000417C: BE9F00FF 00020000
	s_mov_b32 s35, 0x20000                                     // 000000004184: BEA300FF 00020000
	s_mov_b32 s39, 0x20000                                     // 00000000418C: BEA700FF 00020000
	s_mov_b32 s43, 0x20000                                     // 000000004194: BEAB00FF 00020000
	s_and_b32 s9, s9, 0xffff                                   // 00000000419C: 8609FF09 0000FFFF
	s_and_b32 s13, s13, 0xffff                                 // 0000000041A4: 860DFF0D 0000FFFF
	s_and_b32 s17, s17, 0xffff                                 // 0000000041AC: 8611FF11 0000FFFF
	s_and_b32 s21, s21, 0xffff                                 // 0000000041B4: 8615FF15 0000FFFF
	s_and_b32 s25, s25, 0xffff                                 // 0000000041BC: 8619FF19 0000FFFF
	s_and_b32 s29, s29, 0xffff                                 // 0000000041C4: 861DFF1D 0000FFFF
	s_and_b32 s33, s33, 0xffff                                 // 0000000041CC: 8621FF21 0000FFFF
	s_and_b32 s37, s37, 0xffff                                 // 0000000041D4: 8625FF25 0000FFFF
	s_and_b32 s41, s41, 0xffff                                 // 0000000041DC: 8629FF29 0000FFFF
	s_or_b32 s9, s9, 0x40000                                   // 0000000041E4: 8709FF09 00040000
	s_or_b32 s13, s13, 0x40000                                 // 0000000041EC: 870DFF0D 00040000
	s_or_b32 s17, s17, 0x40000                                 // 0000000041F4: 8711FF11 00040000
	s_or_b32 s21, s21, 0x40000                                 // 0000000041FC: 8715FF15 00040000
	s_or_b32 s25, s25, 0x40000                                 // 000000004204: 8719FF19 00040000
	s_or_b32 s29, s29, 0x40000                                 // 00000000420C: 871DFF1D 00040000
	s_or_b32 s33, s33, 0x40000                                 // 000000004214: 8721FF21 00040000
	s_or_b32 s37, s37, 0x40000                                 // 00000000421C: 8725FF25 00040000
	s_or_b32 s41, s41, 0x40000                                 // 000000004224: 8729FF29 00040000
	v_accvgpr_write_b32 a255, 0                                // 00000000422C: D3D940FF 18000080
	v_mov_b32_e32 v255, 0                                      // 000000004234: 7FFE0280
	s_mov_b32 s89, s8                                          // 000000004238: BED90008
	s_mov_b32 s91, s12                                         // 00000000423C: BEDB000C
	s_mov_b32 s93, s16                                         // 000000004240: BEDD0010
	s_mov_b32 s95, s20                                         // 000000004244: BEDF0014
	s_mov_b32 s90, s9                                          // 000000004248: BEDA0009
	s_mov_b32 s92, s13                                         // 00000000424C: BEDC000D
	s_mov_b32 s94, s17                                         // 000000004250: BEDE0011
	s_mov_b32 s96, s21                                         // 000000004254: BEE00015
	s_mov_b32 s71, s3                                          // 000000004258: BEC70003
	v_cvt_f32_u32_e32 v32, s44                                 // 00000000425C: 7E400C2C
	s_sub_i32 s60, 0, s44                                      // 000000004260: 81BC2C80
	v_rcp_iflag_f32_e32 v32, v32                               // 000000004264: 7E404720
	s_nop 0                                                    // 000000004268: BF800000
	v_mul_f32_e32 v32, 0x4f7ffffe, v32                         // 00000000426C: 0A4040FF 4F7FFFFE
	v_cvt_u32_f32_e32 v32, v32                                 // 000000004274: 7E400F20
	v_mul_lo_u32 v33, s60, v32                                 // 000000004278: D2850021 0002403C
	v_mul_hi_u32 v33, v32, v33                                 // 000000004280: D2860021 00024320
	v_add_u32_e32 v32, v32, v33                                // 000000004288: 68404320
	v_mul_hi_u32 v32, s71, v32                                 // 00000000428C: D2860020 00024047
	v_mul_lo_u32 v33, v32, s44                                 // 000000004294: D2850021 00005920
	v_sub_u32_e32 v35, s71, v33                                // 00000000429C: 6A464247
	v_add_u32_e32 v34, 1, v32                                  // 0000000042A0: 68444081
	v_cmp_le_u32_e32 vcc, s44, v35                             // 0000000042A4: 7D96462C
	v_subrev_u32_e32 v33, s44, v35                             // 0000000042A8: 6C42462C
	s_nop 0                                                    // 0000000042AC: BF800000
	v_cndmask_b32_e32 v32, v32, v34, vcc                       // 0000000042B0: 00404520
	v_cndmask_b32_e32 v35, v35, v33, vcc                       // 0000000042B4: 00464323
	v_add_u32_e32 v33, 1, v32                                  // 0000000042B8: 68424081
	v_cmp_le_u32_e32 vcc, s44, v35                             // 0000000042BC: 7D96462C
	s_nop 1                                                    // 0000000042C0: BF800001
	v_cndmask_b32_e32 v35, v32, v33, vcc                       // 0000000042C4: 00464320
	s_nop 3                                                    // 0000000042C8: BF800003
	v_readfirstlane_b32 s45, v35                               // 0000000042CC: 7E5A0523
	s_nop 3                                                    // 0000000042D0: BF800003
	v_mov_b32_e32 v32, s47                                     // 0000000042D4: 7E40022F
	v_mul_f32_e32 v32, s48, v32                                // 0000000042D8: 0A404030
	s_mov_b32 s66, 0                                           // 0000000042DC: BEC20080
	s_mov_b32 s58, s49                                         // 0000000042E0: BEBA0031
	s_mov_b32 s59, 0                                           // 0000000042E4: BEBB0080
	v_readfirstlane_b32 s57, v32                               // 0000000042E8: 7E720520
	s_mov_b32 s67, 0x1800                                      // 0000000042EC: BEC300FF 00001800
	s_cmp_lt_u32 s46, 2                                        // 0000000042F4: BF0A822E
	s_cselect_b32 s24, s24, s28                                // 0000000042F8: 85181C18
	s_cselect_b32 s25, s25, s29                                // 0000000042FC: 85191D19
	s_cselect_b32 s26, s26, s30                                // 000000004300: 851A1E1A
	s_cselect_b32 s27, s27, s31                                // 000000004304: 851B1F1B
	v_mov_b32_e32 v127, 0xff800000                             // 000000004308: 7EFE02FF FF800000
	s_mul_i32 s68, 4, s5                                       // 000000004310: 92440584
	s_mul_i32 s97, 4, s51                                      // 000000004314: 92613384
	s_mov_b32 s69, 16                                          // 000000004318: BEC50090
	s_mul_i32 s60, s6, 0xc0                                    // 00000000431C: 923CFF06 000000C0
	s_mul_i32 s60, s2, s60                                     // 000000004324: 923C3C02
	s_mul_i32 s61, s45, s76                                    // 000000004328: 923D4C2D
	s_add_u32 s54, s60, s61                                    // 00000000432C: 80363D3C
	s_mul_i32 s60, s2, 0xc0                                    // 000000004330: 923CFF02 000000C0
	s_sub_i32 s60, s50, s60                                    // 000000004338: 81BC3C32
	s_mul_i32 s60, s6, s60                                     // 00000000433C: 923C3C06
	s_lshr_b32 s60, s60, 2                                     // 000000004340: 8F3C823C
	s_mov_b32 s14, s60                                         // 000000004344: BE8E003C
	s_add_u32 s12, s54, s91                                    // 000000004348: 800C5B36
	s_addc_u32 s13, 0, s92                                     // 00000000434C: 820D5C80
	s_mul_i32 s60, s4, s77                                     // 000000004350: 923C4D04
	s_mul_hi_u32 s61, s4, s77                                  // 000000004354: 963D4D04
	s_and_b32 s61, s61, 0xffff                                 // 000000004358: 863DFF3D 0000FFFF
	s_add_u32 s12, s12, s60                                    // 000000004360: 800C3C0C
	s_addc_u32 s13, s13, s61                                   // 000000004364: 820D3D0D
	s_mul_i32 s60, s7, 0xc0                                    // 000000004368: 923CFF07 000000C0
	s_mul_i32 s60, s2, s60                                     // 000000004370: 923C3C02
	s_mul_i32 s61, s45, s78                                    // 000000004374: 923D4E2D
	s_add_u32 s54, s60, s61                                    // 000000004378: 80363D3C
	s_mul_i32 s60, s2, 0xc0                                    // 00000000437C: 923CFF02 000000C0
	s_sub_i32 s60, s50, s60                                    // 000000004384: 81BC3C32
	s_mul_i32 s60, s7, s60                                     // 000000004388: 923C3C07
	s_lshr_b32 s60, s60, 2                                     // 00000000438C: 8F3C823C
	s_mov_b32 s18, s60                                         // 000000004390: BE92003C
	s_add_u32 s16, s54, s93                                    // 000000004394: 80105D36
	s_addc_u32 s17, 0, s94                                     // 000000004398: 82115E80
	s_mul_i32 s60, s4, s79                                     // 00000000439C: 923C4F04
	s_mul_hi_u32 s61, s4, s79                                  // 0000000043A0: 963D4F04
	s_and_b32 s61, s61, 0xffff                                 // 0000000043A4: 863DFF3D 0000FFFF
	s_add_u32 s16, s16, s60                                    // 0000000043AC: 80103C10
	s_addc_u32 s17, s17, s61                                   // 0000000043B0: 82113D11
	s_mul_i32 s61, s3, s74                                     // 0000000043B4: 923D4A03
	s_mul_i32 s62, s4, s75                                     // 0000000043B8: 923E4B04
	s_mov_b32 s55, s61                                         // 0000000043BC: BEB7003D
	s_add_u32 s8, s55, s89                                     // 0000000043C0: 80085937
	s_addc_u32 s9, 0, s90                                      // 0000000043C4: 82095A80
	s_mul_i32 s60, s5, s49                                     // 0000000043C8: 923C3105
	s_sub_i32 s61, s60, s61                                    // 0000000043CC: 81BD3D3C
	s_cmp_gt_i32 s5, s74                                       // 0000000043D0: BF024A05
	s_cselect_b32 s60, s61, s60                                // 0000000043D4: 853C3C3D
	s_sub_i32 s61, s60, s62                                    // 0000000043D8: 81BD3E3C
	s_cmp_gt_i32 s5, s75                                       // 0000000043DC: BF024B05
	s_cselect_b32 s60, s61, s60                                // 0000000043E0: 853C3C3D
	s_lshr_b32 s60, s60, 2                                     // 0000000043E4: 8F3C823C
	s_mov_b32 s10, s60                                         // 0000000043E8: BE8A003C
	s_mul_i32 s60, s4, s75                                     // 0000000043EC: 923C4B04
	s_mul_hi_u32 s61, s4, s75                                  // 0000000043F0: 963D4B04
	s_and_b32 s61, s61, 0xffff                                 // 0000000043F4: 863DFF3D 0000FFFF
	s_add_u32 s8, s8, s60                                      // 0000000043FC: 80083C08
	s_addc_u32 s9, s9, s61                                     // 000000004400: 82093D09
	s_mul_i32 s61, s3, s80                                     // 000000004404: 923D5003
	s_mul_i32 s62, s4, s81                                     // 000000004408: 923E5104
	s_mov_b32 s56, s61                                         // 00000000440C: BEB8003D
	s_add_u32 s20, s56, s95                                    // 000000004410: 80145F38
	s_addc_u32 s21, 0, s96                                     // 000000004414: 82156080
	s_mul_i32 s60, s51, s49                                    // 000000004418: 923C3133
	s_sub_i32 s61, s60, s61                                    // 00000000441C: 81BD3D3C
	s_cmp_gt_i32 s51, s80                                      // 000000004420: BF025033
	s_cselect_b32 s60, s61, s60                                // 000000004424: 853C3C3D
	s_sub_i32 s61, s60, s62                                    // 000000004428: 81BD3E3C
	s_cmp_gt_i32 s51, s81                                      // 00000000442C: BF025133
	s_cselect_b32 s60, s61, s60                                // 000000004430: 853C3C3D
	s_lshr_b32 s60, s60, 2                                     // 000000004434: 8F3C823C
	s_mov_b32 s22, s60                                         // 000000004438: BE96003C
	s_mul_i32 s60, s4, s81                                     // 00000000443C: 923C5104
	s_mul_hi_u32 s61, s4, s81                                  // 000000004440: 963D5104
	s_and_b32 s61, s61, 0xffff                                 // 000000004444: 863DFF3D 0000FFFF
	s_add_u32 s20, s20, s60                                    // 00000000444C: 80143C14
	s_addc_u32 s21, s21, s61                                   // 000000004450: 82153D15
	s_mul_i32 s62, s64, s49                                    // 000000004454: 923E3140
	s_lshl_b32 s62, s62, 2                                     // 000000004458: 8E3E823E
	s_mul_i32 s61, s3, s49                                     // 00000000445C: 923D3103
	s_mul_i32 s61, 4, s61                                      // 000000004460: 923D3D84
	s_mov_b32 s65, s61                                         // 000000004464: BEC1003D
	s_mul_i32 s60, 4, s49                                      // 000000004468: 923C3184
	s_add_u32 s60, s60, s61                                    // 00000000446C: 803C3D3C
	s_lshr_b32 s60, s60, 2                                     // 000000004470: 8F3C823C
	s_mov_b32 s26, s60                                         // 000000004474: BE9A003C
	s_mov_b32 s30, s60                                         // 000000004478: BE9E003C
	s_mul_i32 s60, s4, s62                                     // 00000000447C: 923C3E04
	s_mul_hi_u32 s61, s4, s62                                  // 000000004480: 963D3E04
	s_and_b32 s61, s61, 0xffff                                 // 000000004484: 863DFF3D 0000FFFF
	s_add_u32 s24, s24, s60                                    // 00000000448C: 80183C18
	s_addc_u32 s25, s25, s61                                   // 000000004490: 82193D19
	s_mov_b32 s71, s6                                          // 000000004494: BEC70006
	v_and_b32_e32 v32, 3, v0                                   // 000000004498: 26400083
	v_and_b32_e32 v33, 1, v32                                  // 00000000449C: 26424081
	v_lshrrev_b32_e32 v34, 1, v32                              // 0000000044A0: 20444081
	v_lshrrev_b32_e32 v32, 5, v0                               // 0000000044A4: 20400085
	v_xor_b32_e32 v34, v34, v32                                // 0000000044A8: 2A444122
	v_lshlrev_b32_e32 v34, 1, v34                              // 0000000044AC: 24444481
	v_add_u32_e32 v33, v34, v33                                // 0000000044B0: 68424322
	v_lshlrev_b32_e32 v33, 4, v33                              // 0000000044B4: 24424284
	v_lshrrev_b32_e32 v32, 2, v0                               // 0000000044B8: 20400082
	v_mul_i32_i24_e32 v32, s71, v32                            // 0000000044BC: 0C404047
	v_add_u32_e32 v1, v32, v33                                 // 0000000044C0: 68024320
	s_mul_i32 s60, s46, 64                                     // 0000000044C4: 923CC02E
	v_add_u32_e32 v1, s60, v1                                  // 0000000044C8: 6802023C
	v_and_b32_e32 v32, 7, v0                                   // 0000000044CC: 26400087
	v_lshrrev_b32_e32 v33, 3, v0                               // 0000000044D0: 20420083
	v_and_b32_e32 v33, 1, v33                                  // 0000000044D4: 26424281
	s_lshr_b32 s60, s46, 1                                     // 0000000044D8: 8F3C812E
	v_xor_b32_e64 v33, v33, s60                                // 0000000044DC: D1150021 00007921
	v_lshlrev_b32_e32 v33, 3, v33                              // 0000000044E4: 24424283
	v_add_u32_e32 v32, v32, v33                                // 0000000044E8: 68404320
	v_lshlrev_b32_e32 v32, 2, v32                              // 0000000044EC: 24404082
	s_mul_i32 s60, s46, 4                                      // 0000000044F0: 923C842E
	v_lshrrev_b32_e32 v33, 4, v0                               // 0000000044F4: 20420084
	v_add_u32_e64 v33, v33, s60                                // 0000000044F8: D1340021 00007921
	v_mul_i32_i24_e32 v33, s71, v33                            // 000000004500: 0C424247
	v_add_u32_e32 v2, v32, v33                                 // 000000004504: 68044320
	s_mov_b32 s60, 0x100                                       // 000000004508: BEBC00FF 00000100
	v_add_u32_e64 v2, v2, s60                                  // 000000004510: D1340002 00007902
	v_add_u32_e64 v3, v2, 64                                   // 000000004518: D1340003 00018102
	s_mov_b32 s71, s7                                          // 000000004520: BEC70007
	v_and_b32_e32 v32, 3, v0                                   // 000000004524: 26400083
	v_and_b32_e32 v33, 1, v32                                  // 000000004528: 26424081
	v_lshrrev_b32_e32 v34, 1, v32                              // 00000000452C: 20444081
	v_lshrrev_b32_e32 v32, 5, v0                               // 000000004530: 20400085
	v_xor_b32_e32 v34, v34, v32                                // 000000004534: 2A444122
	v_lshlrev_b32_e32 v34, 1, v34                              // 000000004538: 24444481
	v_add_u32_e32 v33, v34, v33                                // 00000000453C: 68424322
	v_lshlrev_b32_e32 v33, 4, v33                              // 000000004540: 24424284
	v_lshrrev_b32_e32 v32, 2, v0                               // 000000004544: 20400082
	v_mul_i32_i24_e32 v32, s71, v32                            // 000000004548: 0C404047
	v_add_u32_e32 v4, v32, v33                                 // 00000000454C: 68084320
	s_mul_i32 s60, s46, 64                                     // 000000004550: 923CC02E
	v_add_u32_e32 v4, s60, v4                                  // 000000004554: 6808083C
	v_lshrrev_b32_e32 v1, 2, v1                                // 000000004558: 20020282
	v_lshrrev_b32_e32 v2, 2, v2                                // 00000000455C: 20040482
	v_lshrrev_b32_e32 v3, 2, v3                                // 000000004560: 20060682
	v_lshrrev_b32_e32 v4, 2, v4                                // 000000004564: 20080882
	v_and_b32_e32 v11, 15, v0                                  // 000000004568: 2616008F
	v_lshlrev_b32_e32 v11, 2, v11                              // 00000000456C: 24161682
	v_add_u32_e32 v11, s65, v11                                // 000000004570: 68161641
	v_lshrrev_b32_e32 v11, 2, v11                              // 000000004574: 20161682
	s_mov_b32 s70, s52                                         // 000000004578: BEC60034
	v_lshrrev_b32_e32 v32, 3, v0                               // 00000000457C: 20400083
	v_mul_i32_i24_e32 v5, s70, v32                             // 000000004580: 0C0A4046
	v_lshrrev_b32_e32 v5, 2, v5                                // 000000004584: 200A0A82
	v_and_b32_e32 v32, 7, v0                                   // 000000004588: 26400087
	v_lshlrev_b32_e32 v33, 2, v32                              // 00000000458C: 24424082
	v_add_u32_e32 v5, v33, v5                                  // 000000004590: 680A0B21
	s_mul_i32 s60, 16, s70                                     // 000000004594: 923C4690
	s_mul_i32 s60, s46, s60                                    // 000000004598: 923C3C2E
	v_lshlrev_b32_e32 v5, 2, v5                                // 00000000459C: 240A0A82
	v_add_u32_e32 v5, s60, v5                                  // 0000000045A0: 680A0A3C
	s_mul_i32 s60, 0xc0, s52                                   // 0000000045A4: 923C34FF 000000C0
	s_mul_i32 s60, s2, s60                                     // 0000000045AC: 923C3C02
	s_mul_i32 s61, s3, s82                                     // 0000000045B0: 923D5203
	s_add_u32 s60, s60, s61                                    // 0000000045B4: 803C3D3C
	s_add_u32 s36, s60, s36                                    // 0000000045B8: 8024243C
	s_addc_u32 s37, 0, s37                                     // 0000000045BC: 82252580
	s_mul_i32 s60, s2, 0xc0                                    // 0000000045C0: 923CFF02 000000C0
	s_sub_i32 s60, s50, s60                                    // 0000000045C8: 81BC3C32
	s_mul_i32 s60, s52, s60                                    // 0000000045CC: 923C3C34
	s_mov_b32 s38, s60                                         // 0000000045D0: BEA6003C
	s_mul_i32 s60, s4, s83                                     // 0000000045D4: 923C5304
	s_mul_hi_u32 s61, s4, s83                                  // 0000000045D8: 963D5304
	s_and_b32 s61, s61, 0xffff                                 // 0000000045DC: 863DFF3D 0000FFFF
	s_add_u32 s36, s36, s60                                    // 0000000045E4: 80243C24
	s_addc_u32 s37, s37, s61                                   // 0000000045E8: 82253D25
	s_mov_b32 s70, s53                                         // 0000000045EC: BEC60035
	v_lshrrev_b32_e32 v32, 3, v0                               // 0000000045F0: 20400083
	v_mul_i32_i24_e32 v6, s70, v32                             // 0000000045F4: 0C0C4046
	v_lshrrev_b32_e32 v6, 2, v6                                // 0000000045F8: 200C0C82
	v_and_b32_e32 v32, 7, v0                                   // 0000000045FC: 26400087
	v_lshlrev_b32_e32 v33, 2, v32                              // 000000004600: 24424082
	v_add_u32_e32 v6, v33, v6                                  // 000000004604: 680C0D21
	s_mul_i32 s60, 16, s70                                     // 000000004608: 923C4690
	s_mul_i32 s60, s46, s60                                    // 00000000460C: 923C3C2E
	v_lshlrev_b32_e32 v6, 2, v6                                // 000000004610: 240C0C82
	v_add_u32_e32 v6, s60, v6                                  // 000000004614: 680C0C3C
	s_mul_i32 s60, 0xc0, s53                                   // 000000004618: 923C35FF 000000C0
	s_mul_i32 s60, s2, s60                                     // 000000004620: 923C3C02
	s_mul_i32 s61, s3, s84                                     // 000000004624: 923D5403
	s_add_u32 s60, s60, s61                                    // 000000004628: 803C3D3C
	s_add_u32 s40, s60, s40                                    // 00000000462C: 8028283C
	s_addc_u32 s41, 0, s41                                     // 000000004630: 82292980
	s_mul_i32 s60, s2, 0xc0                                    // 000000004634: 923CFF02 000000C0
	s_sub_i32 s60, s50, s60                                    // 00000000463C: 81BC3C32
	s_mul_i32 s60, s53, s60                                    // 000000004640: 923C3C35
	s_mov_b32 s42, s60                                         // 000000004644: BEAA003C
	s_mul_i32 s60, s4, s85                                     // 000000004648: 923C5504
	s_mul_hi_u32 s61, s4, s85                                  // 00000000464C: 963D5504
	s_and_b32 s61, s61, 0xffff                                 // 000000004650: 863DFF3D 0000FFFF
	s_add_u32 s40, s40, s60                                    // 000000004658: 80283C28
	s_addc_u32 s41, s41, s61                                   // 00000000465C: 82293D29
	v_lshrrev_b32_e32 v32, 5, v0                               // 000000004660: 20400085
	v_mul_i32_i24_e32 v7, 0x60, v32                            // 000000004664: 0C0E40FF 00000060
	v_and_b32_e32 v32, 31, v0                                  // 00000000466C: 2640009F
	v_add_u32_e32 v7, v32, v7                                  // 000000004670: 680E0F20
	v_mov_b32_e32 v8, v7                                       // 000000004674: 7E100307
	v_mov_b32_e32 v9, v7                                       // 000000004678: 7E120307
	s_and_b32 s60, 1, s46                                      // 00000000467C: 863C2E81
	s_lshr_b32 s61, s46, 1                                     // 000000004680: 8F3D812E
	s_xor_b32 s62, s61, s60                                    // 000000004684: 883E3C3D
	v_mov_b32_e32 v32, s62                                     // 000000004688: 7E40023E
	v_lshlrev_b32_e32 v33, 1, v32                              // 00000000468C: 24424081
	v_add_u32_e32 v33, s60, v33                                // 000000004690: 6842423C
	v_mul_i32_i24_e32 v33, 0x180, v33                          // 000000004694: 0C4242FF 00000180
	v_add_u32_e32 v7, v33, v7                                  // 00000000469C: 680E0F21
	s_mul_i32 s62, s61, s46                                    // 0000000046A0: 923E2E3D
	s_sub_i32 s62, s62, s61                                    // 0000000046A4: 81BE3D3E
	s_mul_i32 s62, 32, s62                                     // 0000000046A8: 923E3EA0
	v_add_u32_e32 v7, s62, v7                                  // 0000000046AC: 680E0E3E
	s_lshl_b32 s62, s61, 1                                     // 0000000046B0: 8E3E813D
	s_add_u32 s62, 1, s62                                      // 0000000046B4: 803E3E81
	s_sub_i32 s62, s62, s60                                    // 0000000046B8: 81BE3C3E
	s_mul_i32 s62, 0x180, s62                                  // 0000000046BC: 923E3EFF 00000180
	v_add_u32_e32 v8, s62, v8                                  // 0000000046C4: 6810103E
	s_and_b32 s62, s60, s61                                    // 0000000046C8: 863E3D3C
	s_lshl_b32 s62, s62, 1                                     // 0000000046CC: 8E3E813E
	v_add_u32_e32 v33, s62, v32                                // 0000000046D0: 6842403E
	v_mul_i32_i24_e32 v33, 32, v33                             // 0000000046D4: 0C4242A0
	v_add_u32_e32 v8, v33, v8                                  // 0000000046D8: 68101121
	v_sub_u32_e32 v33, 1, v32                                  // 0000000046DC: 6A424081
	v_lshlrev_b32_e32 v33, 1, v33                              // 0000000046E0: 24424281
	v_add_u32_e32 v33, s60, v33                                // 0000000046E4: 6842423C
	v_mul_i32_i24_e32 v33, 0x180, v33                          // 0000000046E8: 0C4242FF 00000180
	v_add_u32_e32 v9, v33, v9                                  // 0000000046F0: 68121321
	s_and_b32 s62, s60, s61                                    // 0000000046F4: 863E3D3C
	s_sub_i32 s62, s46, s62                                    // 0000000046F8: 81BE3E2E
	s_mul_i32 s62, 32, s62                                     // 0000000046FC: 923E3EA0
	v_add_u32_e32 v9, s62, v9                                  // 000000004700: 6812123E
	v_lshlrev_b32_e32 v7, 2, v7                                // 000000004704: 240E0E82
	v_lshlrev_b32_e32 v8, 2, v8                                // 000000004708: 24101082
	v_lshlrev_b32_e32 v9, 2, v9                                // 00000000470C: 24121282
	s_add_u32 s60, s49, 15                                     // 000000004710: 803C8F31
	s_lshr_b32 s60, s60, 4                                     // 000000004714: 8F3C843C
	s_lshl_b32 s60, s60, 4                                     // 000000004718: 8E3C843C
	s_mul_i32 s61, s60, 0x180                                  // 00000000471C: 923DFF3C 00000180
	s_mul_i32 s62, s61, s64                                    // 000000004724: 923E403D
	s_mul_i32 s61, s3, s61                                     // 000000004728: 923D3D03
	s_mov_b32 s72, s61                                         // 00000000472C: BEC8003D
	s_add_u32 s32, s72, s32                                    // 000000004730: 80202048
	s_addc_u32 s33, 0, s33                                     // 000000004734: 82212180
	s_mul_i32 s60, 0x180, s60                                  // 000000004738: 923C3CFF 00000180
	s_mov_b32 s34, s60                                         // 000000004740: BEA2003C
	s_mul_i32 s60, s4, s62                                     // 000000004744: 923C3E04
	s_mul_hi_u32 s61, s4, s62                                  // 000000004748: 963D3E04
	s_and_b32 s61, s61, 0xffff                                 // 00000000474C: 863DFF3D 0000FFFF
	s_add_u32 s32, s32, s60                                    // 000000004754: 80203C20
	s_addc_u32 s33, s33, s61                                   // 000000004758: 82213D21
	s_mul_i32 s60, 3, s2                                       // 00000000475C: 923C0283
	s_add_u32 s61, s50, 63                                     // 000000004760: 803DBF32
	s_lshr_b32 s61, s61, 6                                     // 000000004764: 8F3D863D
	s_sub_i32 s73, s61, s60                                    // 000000004768: 81C93C3D
	s_cmp_lt_i32 s73, 3                                        // 00000000476C: BF048349
	s_cselect_b32 s73, s73, 3                                  // 000000004770: 85498349
	s_mul_i32 s60, 0xc0, s2                                    // 000000004774: 923C02FF 000000C0
	s_sub_i32 s98, s50, s60                                    // 00000000477C: 81E23C32
	v_lshrrev_b32_e32 v32, 4, v0                               // 000000004780: 20400084
	v_and_b32_e32 v33, 1, v32                                  // 000000004784: 26424081
	v_lshrrev_b32_e32 v34, 1, v32                              // 000000004788: 20444081
	v_and_b32_e32 v32, 15, v0                                  // 00000000478C: 2640008F
	v_lshlrev_b32_e32 v12, 4, v32                              // 000000004790: 24184084
	v_lshrrev_b32_e32 v32, 3, v32                              // 000000004794: 20404083
	v_xor_b32_e32 v32, v32, v34                                // 000000004798: 2A404520
	v_lshlrev_b32_e32 v32, 1, v32                              // 00000000479C: 24404081
	v_add_u32_e32 v32, v33, v32                                // 0000000047A0: 68404121
	v_lshlrev_b32_e32 v32, 2, v32                              // 0000000047A4: 24404082
	v_add_u32_e32 v12, v32, v12                                // 0000000047A8: 68181920
	v_lshlrev_b32_e32 v12, 2, v12                              // 0000000047AC: 24181882
	s_mul_i32 s60, s46, 0x1800                                 // 0000000047B0: 923CFF2E 00001800
	v_add_u32_e32 v17, s60, v12                                // 0000000047B8: 6822183C
	s_mul_i32 s60, s46, 0x1000                                 // 0000000047BC: 923CFF2E 00001000
	v_add_u32_e32 v18, s60, v12                                // 0000000047C4: 6824183C
	v_and_b32_e32 v32, 15, v0                                  // 0000000047C8: 2640008F
	v_and_b32_e32 v33, 3, v32                                  // 0000000047CC: 26424083
	v_lshrrev_b32_e32 v34, 2, v32                              // 0000000047D0: 20444082
	v_lshlrev_b32_e32 v33, 1, v33                              // 0000000047D4: 24424281
	v_lshlrev_b32_e32 v34, 4, v34                              // 0000000047D8: 24444484
	v_add_u32_e32 v13, v33, v34                                // 0000000047DC: 681A4521
	v_lshrrev_b32_e32 v32, 5, v0                               // 0000000047E0: 20400085
	v_mul_i32_i24_e32 v33, 0x600, v32                          // 0000000047E4: 0C4240FF 00000600
	v_mul_i32_i24_e32 v34, 0x80, v32                           // 0000000047EC: 0C4440FF 00000080
	v_add_u32_e32 v19, v33, v13                                // 0000000047F4: 68261B21
	v_add_u32_e32 v13, v34, v13                                // 0000000047F8: 681A1B22
	v_lshrrev_b32_e32 v33, 4, v0                               // 0000000047FC: 20420084
	v_and_b32_e32 v33, 1, v33                                  // 000000004800: 26424281
	v_mul_i32_i24_e32 v34, 0x80, v33                           // 000000004804: 0C4442FF 00000080
	v_add_u32_e32 v19, v34, v19                                // 00000000480C: 68262722
	v_xor_b32_e32 v32, v32, v33                                // 000000004810: 2A404320
	v_mul_i32_i24_e32 v32, 8, v32                              // 000000004814: 0C404088
	v_add_u32_e32 v13, v32, v13                                // 000000004818: 681A1B20
	v_mul_i32_i24_e32 v32, 8, v33                              // 00000000481C: 0C404288
	v_xor_b32_e32 v33, 1, v33                                  // 000000004820: 2A424281
	v_mul_i32_i24_e32 v33, 8, v33                              // 000000004824: 0C424288
	v_add_u32_e32 v20, v33, v19                                // 000000004828: 68282721
	v_add_u32_e32 v19, v32, v19                                // 00000000482C: 68262720
	v_mov_b32_e32 v32, v19                                     // 000000004830: 7E400313
	v_mov_b32_e32 v33, v20                                     // 000000004834: 7E420314
	s_and_b32 s60, 1, s46                                      // 000000004838: 863C2E81
	s_sub_i32 s61, 1, s60                                      // 00000000483C: 81BD3C81
	v_mul_i32_i24_e32 v34, s61, v32                            // 000000004840: 0C44403D
	v_mul_i32_i24_e32 v35, s60, v33                            // 000000004844: 0C46423C
	v_add_u32_e32 v19, v34, v35                                // 000000004848: 68264722
	v_mul_i32_i24_e32 v34, s60, v32                            // 00000000484C: 0C44403C
	v_mul_i32_i24_e32 v35, s61, v33                            // 000000004850: 0C46423D
	v_add_u32_e32 v20, v34, v35                                // 000000004854: 68284722
	s_mul_i32 s61, 0x100, s46                                  // 000000004858: 923D2EFF 00000100
	v_add_u32_e32 v19, s61, v19                                // 000000004860: 6826263D
	s_lshr_b32 s61, s46, 1                                     // 000000004864: 8F3D812E
	s_mul_i32 s62, 0x100, s61                                  // 000000004868: 923E3DFF 00000100
	v_add_u32_e32 v19, s62, v19                                // 000000004870: 6826263E
	v_mov_b32_e32 v21, v19                                     // 000000004874: 7E2A0313
	v_add_u32_e32 v21, 0x100, v21                              // 000000004878: 682A2AFF 00000100
	s_mul_i32 s60, 0x200, s60                                  // 000000004880: 923C3CFF 00000200
	s_mul_i32 s61, 0x300, s61                                  // 000000004888: 923D3DFF 00000300
	v_add_u32_e32 v20, s60, v20                                // 000000004890: 6828283C
	v_add_u32_e32 v20, s61, v20                                // 000000004894: 6828283D
	v_lshlrev_b32_e32 v13, 2, v13                              // 000000004898: 241A1A82
	v_lshlrev_b32_e32 v19, 2, v19                              // 00000000489C: 24262682
	v_lshlrev_b32_e32 v20, 2, v20                              // 0000000048A0: 24282882
	v_lshlrev_b32_e32 v21, 2, v21                              // 0000000048A4: 242A2A82
	v_lshrrev_b32_e32 v32, 4, v0                               // 0000000048A8: 20400084
	v_mul_i32_i24_e32 v16, 4, v32                              // 0000000048AC: 0C204084
	v_and_b32_e32 v33, 3, v0                                   // 0000000048B0: 26420083
	v_add_u32_e32 v16, v33, v16                                // 0000000048B4: 68202121
	v_lshlrev_b32_e32 v16, 2, v16                              // 0000000048B8: 24202082
	v_and_b32_e32 v32, 15, v0                                  // 0000000048BC: 2640008F
	v_and_b32_e32 v33, 3, v32                                  // 0000000048C0: 26424083
	v_and_b32_e32 v34, 1, v33                                  // 0000000048C4: 26444281
	v_lshlrev_b32_e32 v14, 5, v34                              // 0000000048C8: 241C4485
	v_lshrrev_b32_e32 v33, 1, v33                              // 0000000048CC: 20424281
	v_mul_i32_i24_e32 v33, 0x48, v33                           // 0000000048D0: 0C4242FF 00000048
	v_add_u32_e32 v14, v33, v14                                // 0000000048D8: 681C1D21
	v_lshrrev_b32_e32 v33, 2, v32                              // 0000000048DC: 20424082
	v_lshlrev_b32_e32 v33, 1, v33                              // 0000000048E0: 24424281
	v_add_u32_e32 v14, v33, v14                                // 0000000048E4: 681C1D21
	v_lshrrev_b32_e32 v32, 5, v0                               // 0000000048E8: 20400085
	v_mul_i32_i24_e32 v32, 0x90, v32                           // 0000000048EC: 0C4040FF 00000090
	v_and_b32_e32 v33, 16, v0                                  // 0000000048F4: 26420090
	v_add_u32_e32 v14, v32, v14                                // 0000000048F8: 681C1D20
	v_add_u32_e32 v14, v33, v14                                // 0000000048FC: 681C1D21
	v_lshlrev_b32_e32 v14, 2, v14                              // 000000004900: 241C1C82
	v_lshrrev_b32_e32 v32, 5, v0                               // 000000004904: 20400085
	v_mul_i32_i24_e32 v15, 0x48, v32                           // 000000004908: 0C1E40FF 00000048
	v_and_b32_e32 v32, 31, v0                                  // 000000004910: 2640009F
	v_lshlrev_b32_e32 v32, 1, v32                              // 000000004914: 24404081
	v_add_u32_e32 v15, v32, v15                                // 000000004918: 681E1F20
	s_mul_i32 s60, s46, 0x90                                   // 00000000491C: 923CFF2E 00000090
	v_add_u32_e32 v15, s60, v15                                // 000000004924: 681E1E3C
	v_lshlrev_b32_e32 v15, 2, v15                              // 000000004928: 241E1E82
	s_mul_i32 s60, s46, 0x400                                  // 00000000492C: 923CFF2E 00000400
	s_add_u32 m0, 0, s60                                       // 000000004934: 807C3C80
	buffer_load_dwordx4 v4, s[16:19], 0 idxen lds              // 000000004938: E05D2000 80040004
	s_add_u32 m0, 0x1000, m0                                   // 000000004940: 807C7CFF 00001000
	s_mul_i32 s60, 4, s7                                       // 000000004948: 923C0784
	v_add_u32_e32 v4, s60, v4                                  // 00000000494C: 6808083C
	buffer_load_dwordx4 v4, s[16:19], 0 idxen lds              // 000000004950: E05D2000 80040004
	s_add_u32 m0, 0x1000, m0                                   // 000000004958: 807C7CFF 00001000
	s_mul_i32 s60, 4, s7                                       // 000000004960: 923C0784
	v_add_u32_e32 v4, s60, v4                                  // 000000004964: 6808083C
	buffer_load_dwordx4 v4, s[16:19], 0 idxen lds              // 000000004968: E05D2000 80040004
	s_add_u32 m0, 0x1000, m0                                   // 000000004970: 807C7CFF 00001000
	s_mul_i32 s60, 4, s7                                       // 000000004978: 923C0784
	v_add_u32_e32 v4, s60, v4                                  // 00000000497C: 6808083C
	buffer_load_dwordx4 v4, s[16:19], 0 idxen lds              // 000000004980: E05D2000 80040004
	s_add_u32 m0, 0x1000, m0                                   // 000000004988: 807C7CFF 00001000
	s_mul_i32 s60, 4, s7                                       // 000000004990: 923C0784
	v_add_u32_e32 v4, s60, v4                                  // 000000004994: 6808083C
	buffer_load_dwordx4 v4, s[16:19], 0 idxen lds              // 000000004998: E05D2000 80040004
	s_add_u32 m0, 0x1000, m0                                   // 0000000049A0: 807C7CFF 00001000
	s_mul_i32 s60, 4, s7                                       // 0000000049A8: 923C0784
	v_add_u32_e32 v4, s60, v4                                  // 0000000049AC: 6808083C
	buffer_load_dwordx4 v4, s[16:19], 0 idxen lds              // 0000000049B0: E05D2000 80040004
	s_add_u32 m0, 0x1000, m0                                   // 0000000049B8: 807C7CFF 00001000
	s_mul_i32 s60, 4, s7                                       // 0000000049C0: 923C0784
	v_add_u32_e32 v4, s60, v4                                  // 0000000049C4: 6808083C
	buffer_load_dwordx4 v4, s[16:19], 0 idxen lds              // 0000000049C8: E05D2000 80040004
	s_add_u32 m0, 0x1000, m0                                   // 0000000049D0: 807C7CFF 00001000
	s_mul_i32 s60, 4, s7                                       // 0000000049D8: 923C0784
	v_add_u32_e32 v4, s60, v4                                  // 0000000049DC: 6808083C
	buffer_load_dwordx4 v4, s[16:19], 0 idxen lds              // 0000000049E0: E05D2000 80040004
	s_add_u32 m0, 0x1000, m0                                   // 0000000049E8: 807C7CFF 00001000
	s_mul_i32 s60, 4, s7                                       // 0000000049F0: 923C0784
	v_add_u32_e32 v4, s60, v4                                  // 0000000049F4: 6808083C
	buffer_load_dwordx4 v4, s[16:19], 0 idxen lds              // 0000000049F8: E05D2000 80040004
	s_add_u32 m0, 0x1000, m0                                   // 000000004A00: 807C7CFF 00001000
	s_mul_i32 s60, 4, s7                                       // 000000004A08: 923C0784
	v_add_u32_e32 v4, s60, v4                                  // 000000004A0C: 6808083C
	buffer_load_dwordx4 v4, s[16:19], 0 idxen lds              // 000000004A10: E05D2000 80040004
	s_add_u32 m0, 0x1000, m0                                   // 000000004A18: 807C7CFF 00001000
	s_mul_i32 s60, 4, s7                                       // 000000004A20: 923C0784
	v_add_u32_e32 v4, s60, v4                                  // 000000004A24: 6808083C
	buffer_load_dwordx4 v4, s[16:19], 0 idxen lds              // 000000004A28: E05D2000 80040004
	s_add_u32 m0, 0x1000, m0                                   // 000000004A30: 807C7CFF 00001000
	s_mul_i32 s60, 4, s7                                       // 000000004A38: 923C0784
	v_add_u32_e32 v4, s60, v4                                  // 000000004A3C: 6808083C
	buffer_load_dwordx4 v4, s[16:19], 0 idxen lds              // 000000004A40: E05D2000 80040004
	s_add_u32 m0, 0x1000, m0                                   // 000000004A48: 807C7CFF 00001000
	s_mul_i32 s60, 4, s7                                       // 000000004A50: 923C0784
	v_add_u32_e32 v4, s60, v4                                  // 000000004A54: 6808083C
	s_mul_i32 s60, s46, 0x400                                  // 000000004A58: 923CFF2E 00000400
	s_mul_i32 s61, s46, 0x100                                  // 000000004A60: 923DFF2E 00000100
	s_add_u32 s74, 0xc000, s60                                 // 000000004A68: 804A3CFF 0000C000
	s_add_u32 s75, 0xc000, s61                                 // 000000004A70: 804B3DFF 0000C000
	s_add_u32 s75, 0x1000, s75                                 // 000000004A78: 804B4BFF 00001000
	s_add_u32 s76, 0x400, s75                                  // 000000004A80: 804C4BFF 00000400
	s_waitcnt vmcnt(8) lgkmcnt(0)                              // 000000004A88: BF8C0078
	s_barrier                                                  // 000000004A8C: BF8A0000
	ds_read_b128 a[64:67], v18                                 // 000000004A90: DBFE0000 40000012
	ds_read_b128 a[68:71], v18 offset:1024                     // 000000004A98: DBFE0400 44000012
	ds_read_b128 a[72:75], v18 offset:2048                     // 000000004AA0: DBFE0800 48000012
	ds_read_b128 a[76:79], v18 offset:3072                     // 000000004AA8: DBFE0C00 4C000012
	s_waitcnt lgkmcnt(0)                                       // 000000004AB0: BF8CC07F
	s_barrier                                                  // 000000004AB4: BF8A0000
	s_mov_b32 m0, s74                                          // 000000004AB8: BEFC004A
	buffer_load_dwordx4 v1, s[12:15], 0 idxen lds              // 000000004ABC: E05D2000 80030001
	s_mov_b32 m0, s75                                          // 000000004AC4: BEFC004B
	buffer_load_dword v2, s[12:15], 0 idxen lds                // 000000004AC8: E0512000 80030002
	s_mov_b32 m0, s76                                          // 000000004AD0: BEFC004C
	buffer_load_dword v3, s[12:15], 0 idxen lds                // 000000004AD4: E0512000 80030003
	s_add_u32 s74, 0x1800, s74                                 // 000000004ADC: 804A4AFF 00001800
	s_add_u32 s75, 0x1800, s75                                 // 000000004AE4: 804B4BFF 00001800
	s_add_u32 s76, 0x1800, s76                                 // 000000004AEC: 804C4CFF 00001800
	s_mul_i32 s60, 4, s6                                       // 000000004AF4: 923C0684
	v_add_u32_e32 v1, s60, v1                                  // 000000004AF8: 6802023C
	v_add_u32_e32 v2, s60, v2                                  // 000000004AFC: 6804043C
	v_add_u32_e32 v3, s60, v3                                  // 000000004B00: 6806063C
	s_mov_b32 m0, s74                                          // 000000004B04: BEFC004A
	buffer_load_dwordx4 v1, s[12:15], 0 idxen lds              // 000000004B08: E05D2000 80030001
	s_mov_b32 m0, s75                                          // 000000004B10: BEFC004B
	buffer_load_dword v2, s[12:15], 0 idxen lds                // 000000004B14: E0512000 80030002
	s_mov_b32 m0, s76                                          // 000000004B1C: BEFC004C
	buffer_load_dword v3, s[12:15], 0 idxen lds                // 000000004B20: E0512000 80030003
	s_add_u32 s74, 0x1800, s74                                 // 000000004B28: 804A4AFF 00001800
	s_add_u32 s75, 0x1800, s75                                 // 000000004B30: 804B4BFF 00001800
	s_add_u32 s76, 0x1800, s76                                 // 000000004B38: 804C4CFF 00001800
	s_mul_i32 s60, 4, s6                                       // 000000004B40: 923C0684
	v_add_u32_e32 v1, s60, v1                                  // 000000004B44: 6802023C
	v_add_u32_e32 v2, s60, v2                                  // 000000004B48: 6804043C
	v_add_u32_e32 v3, s60, v3                                  // 000000004B4C: 6806063C
	s_mov_b32 m0, s74                                          // 000000004B50: BEFC004A
	buffer_load_dwordx4 v1, s[12:15], 0 idxen lds              // 000000004B54: E05D2000 80030001
	s_mov_b32 m0, s75                                          // 000000004B5C: BEFC004B
	buffer_load_dword v2, s[12:15], 0 idxen lds                // 000000004B60: E0512000 80030002
	s_mov_b32 m0, s76                                          // 000000004B68: BEFC004C
	buffer_load_dword v3, s[12:15], 0 idxen lds                // 000000004B6C: E0512000 80030003
	s_add_u32 s74, 0x1800, s74                                 // 000000004B74: 804A4AFF 00001800
	s_add_u32 s75, 0x1800, s75                                 // 000000004B7C: 804B4BFF 00001800
	s_add_u32 s76, 0x1800, s76                                 // 000000004B84: 804C4CFF 00001800
	s_mul_i32 s60, 4, s6                                       // 000000004B8C: 923C0684
	v_add_u32_e32 v1, s60, v1                                  // 000000004B90: 6802023C
	v_add_u32_e32 v2, s60, v2                                  // 000000004B94: 6804043C
	v_add_u32_e32 v3, s60, v3                                  // 000000004B98: 6806063C
	s_mov_b32 m0, s74                                          // 000000004B9C: BEFC004A
	buffer_load_dwordx4 v1, s[12:15], 0 idxen lds              // 000000004BA0: E05D2000 80030001
	s_mov_b32 m0, s75                                          // 000000004BA8: BEFC004B
	buffer_load_dword v2, s[12:15], 0 idxen lds                // 000000004BAC: E0512000 80030002
	s_mov_b32 m0, s76                                          // 000000004BB4: BEFC004C
	buffer_load_dword v3, s[12:15], 0 idxen lds                // 000000004BB8: E0512000 80030003
	s_add_u32 s74, 0x1800, s74                                 // 000000004BC0: 804A4AFF 00001800
	s_add_u32 s75, 0x1800, s75                                 // 000000004BC8: 804B4BFF 00001800
	s_add_u32 s76, 0x1800, s76                                 // 000000004BD0: 804C4CFF 00001800
	s_mul_i32 s60, 4, s6                                       // 000000004BD8: 923C0684
	v_add_u32_e32 v1, s60, v1                                  // 000000004BDC: 6802023C
	v_add_u32_e32 v2, s60, v2                                  // 000000004BE0: 6804043C
	v_add_u32_e32 v3, s60, v3                                  // 000000004BE4: 6806063C
	s_waitcnt vmcnt(16) lgkmcnt(0)                             // 000000004BE8: BF8C4070
	s_barrier                                                  // 000000004BEC: BF8A0000
	ds_read_b128 a[80:83], v18 offset:16384                    // 000000004BF0: DBFE4000 50000012
	ds_read_b128 a[84:87], v18 offset:17408                    // 000000004BF8: DBFE4400 54000012
	ds_read_b128 a[88:91], v18 offset:18432                    // 000000004C00: DBFE4800 58000012
	ds_read_b128 a[92:95], v18 offset:19456                    // 000000004C08: DBFE4C00 5C000012
	s_waitcnt lgkmcnt(0)                                       // 000000004C10: BF8CC07F
	s_barrier                                                  // 000000004C14: BF8A0000
	s_mov_b32 m0, s74                                          // 000000004C18: BEFC004A
	buffer_load_dwordx4 v1, s[12:15], 0 idxen lds              // 000000004C1C: E05D2000 80030001
	s_mov_b32 m0, s75                                          // 000000004C24: BEFC004B
	buffer_load_dword v2, s[12:15], 0 idxen lds                // 000000004C28: E0512000 80030002
	s_mov_b32 m0, s76                                          // 000000004C30: BEFC004C
	buffer_load_dword v3, s[12:15], 0 idxen lds                // 000000004C34: E0512000 80030003
	s_add_u32 s74, 0x1800, s74                                 // 000000004C3C: 804A4AFF 00001800
	s_add_u32 s75, 0x1800, s75                                 // 000000004C44: 804B4BFF 00001800
	s_add_u32 s76, 0x1800, s76                                 // 000000004C4C: 804C4CFF 00001800
	s_mul_i32 s60, 4, s6                                       // 000000004C54: 923C0684
	v_add_u32_e32 v1, s60, v1                                  // 000000004C58: 6802023C
	v_add_u32_e32 v2, s60, v2                                  // 000000004C5C: 6804043C
	v_add_u32_e32 v3, s60, v3                                  // 000000004C60: 6806063C
	s_mov_b32 m0, s74                                          // 000000004C64: BEFC004A
	buffer_load_dwordx4 v1, s[12:15], 0 idxen lds              // 000000004C68: E05D2000 80030001
	s_mov_b32 m0, s75                                          // 000000004C70: BEFC004B
	buffer_load_dword v2, s[12:15], 0 idxen lds                // 000000004C74: E0512000 80030002
	s_mov_b32 m0, s76                                          // 000000004C7C: BEFC004C
	buffer_load_dword v3, s[12:15], 0 idxen lds                // 000000004C80: E0512000 80030003
	s_add_u32 s74, 0x1800, s74                                 // 000000004C88: 804A4AFF 00001800
	s_add_u32 s75, 0x1800, s75                                 // 000000004C90: 804B4BFF 00001800
	s_add_u32 s76, 0x1800, s76                                 // 000000004C98: 804C4CFF 00001800
	s_mul_i32 s60, 4, s6                                       // 000000004CA0: 923C0684
	v_add_u32_e32 v1, s60, v1                                  // 000000004CA4: 6802023C
	v_add_u32_e32 v2, s60, v2                                  // 000000004CA8: 6804043C
	v_add_u32_e32 v3, s60, v3                                  // 000000004CAC: 6806063C
	s_mov_b32 m0, s74                                          // 000000004CB0: BEFC004A
	buffer_load_dwordx4 v1, s[12:15], 0 idxen lds              // 000000004CB4: E05D2000 80030001
	s_mov_b32 m0, s75                                          // 000000004CBC: BEFC004B
	buffer_load_dword v2, s[12:15], 0 idxen lds                // 000000004CC0: E0512000 80030002
	s_mov_b32 m0, s76                                          // 000000004CC8: BEFC004C
	buffer_load_dword v3, s[12:15], 0 idxen lds                // 000000004CCC: E0512000 80030003
	s_add_u32 s74, 0x1800, s74                                 // 000000004CD4: 804A4AFF 00001800
	s_add_u32 s75, 0x1800, s75                                 // 000000004CDC: 804B4BFF 00001800
	s_add_u32 s76, 0x1800, s76                                 // 000000004CE4: 804C4CFF 00001800
	s_mul_i32 s60, 4, s6                                       // 000000004CEC: 923C0684
	v_add_u32_e32 v1, s60, v1                                  // 000000004CF0: 6802023C
	v_add_u32_e32 v2, s60, v2                                  // 000000004CF4: 6804043C
	v_add_u32_e32 v3, s60, v3                                  // 000000004CF8: 6806063C
	s_mov_b32 m0, s74                                          // 000000004CFC: BEFC004A
	buffer_load_dwordx4 v1, s[12:15], 0 idxen lds              // 000000004D00: E05D2000 80030001
	s_mov_b32 m0, s75                                          // 000000004D08: BEFC004B
	buffer_load_dword v2, s[12:15], 0 idxen lds                // 000000004D0C: E0512000 80030002
	s_mov_b32 m0, s76                                          // 000000004D14: BEFC004C
	buffer_load_dword v3, s[12:15], 0 idxen lds                // 000000004D18: E0512000 80030003
	s_add_u32 s74, 0x1800, s74                                 // 000000004D20: 804A4AFF 00001800
	s_add_u32 s75, 0x1800, s75                                 // 000000004D28: 804B4BFF 00001800
	s_add_u32 s76, 0x1800, s76                                 // 000000004D30: 804C4CFF 00001800
	s_mul_i32 s60, 4, s6                                       // 000000004D38: 923C0684
	v_add_u32_e32 v1, s60, v1                                  // 000000004D3C: 6802023C
	v_add_u32_e32 v2, s60, v2                                  // 000000004D40: 6804043C
	v_add_u32_e32 v3, s60, v3                                  // 000000004D44: 6806063C
	s_waitcnt vmcnt(24) lgkmcnt(0)                             // 000000004D48: BF8C4078
	s_barrier                                                  // 000000004D4C: BF8A0000
	ds_read_b128 a[96:99], v18 offset:32768                    // 000000004D50: DBFE8000 60000012
	ds_read_b128 a[100:103], v18 offset:33792                  // 000000004D58: DBFE8400 64000012
	ds_read_b128 a[104:107], v18 offset:34816                  // 000000004D60: DBFE8800 68000012
	ds_read_b128 a[108:111], v18 offset:35840                  // 000000004D68: DBFE8C00 6C000012
	s_waitcnt lgkmcnt(0)                                       // 000000004D70: BF8CC07F
	s_barrier                                                  // 000000004D74: BF8A0000
	s_mov_b32 m0, s74                                          // 000000004D78: BEFC004A
	buffer_load_dwordx4 v1, s[12:15], 0 idxen lds              // 000000004D7C: E05D2000 80030001
	s_mov_b32 m0, s75                                          // 000000004D84: BEFC004B
	buffer_load_dword v2, s[12:15], 0 idxen lds                // 000000004D88: E0512000 80030002
	s_mov_b32 m0, s76                                          // 000000004D90: BEFC004C
	buffer_load_dword v3, s[12:15], 0 idxen lds                // 000000004D94: E0512000 80030003
	s_add_u32 s74, 0x1800, s74                                 // 000000004D9C: 804A4AFF 00001800
	s_add_u32 s75, 0x1800, s75                                 // 000000004DA4: 804B4BFF 00001800
	s_add_u32 s76, 0x1800, s76                                 // 000000004DAC: 804C4CFF 00001800
	s_mul_i32 s60, 4, s6                                       // 000000004DB4: 923C0684
	v_add_u32_e32 v1, s60, v1                                  // 000000004DB8: 6802023C
	v_add_u32_e32 v2, s60, v2                                  // 000000004DBC: 6804043C
	v_add_u32_e32 v3, s60, v3                                  // 000000004DC0: 6806063C
	s_mov_b32 m0, s74                                          // 000000004DC4: BEFC004A
	buffer_load_dwordx4 v1, s[12:15], 0 idxen lds              // 000000004DC8: E05D2000 80030001
	s_mov_b32 m0, s75                                          // 000000004DD0: BEFC004B
	buffer_load_dword v2, s[12:15], 0 idxen lds                // 000000004DD4: E0512000 80030002
	s_mov_b32 m0, s76                                          // 000000004DDC: BEFC004C
	buffer_load_dword v3, s[12:15], 0 idxen lds                // 000000004DE0: E0512000 80030003
	s_add_u32 s74, 0x1800, s74                                 // 000000004DE8: 804A4AFF 00001800
	s_add_u32 s75, 0x1800, s75                                 // 000000004DF0: 804B4BFF 00001800
	s_add_u32 s76, 0x1800, s76                                 // 000000004DF8: 804C4CFF 00001800
	s_mul_i32 s60, 4, s6                                       // 000000004E00: 923C0684
	v_add_u32_e32 v1, s60, v1                                  // 000000004E04: 6802023C
	v_add_u32_e32 v2, s60, v2                                  // 000000004E08: 6804043C
	v_add_u32_e32 v3, s60, v3                                  // 000000004E0C: 6806063C
	s_mov_b32 m0, s74                                          // 000000004E10: BEFC004A
	buffer_load_dwordx4 v1, s[12:15], 0 idxen lds              // 000000004E14: E05D2000 80030001
	s_mov_b32 m0, s75                                          // 000000004E1C: BEFC004B
	buffer_load_dword v2, s[12:15], 0 idxen lds                // 000000004E20: E0512000 80030002
	s_mov_b32 m0, s76                                          // 000000004E28: BEFC004C
	buffer_load_dword v3, s[12:15], 0 idxen lds                // 000000004E2C: E0512000 80030003
	s_add_u32 s74, 0x1800, s74                                 // 000000004E34: 804A4AFF 00001800
	s_add_u32 s75, 0x1800, s75                                 // 000000004E3C: 804B4BFF 00001800
	s_add_u32 s76, 0x1800, s76                                 // 000000004E44: 804C4CFF 00001800
	s_mul_i32 s60, 4, s6                                       // 000000004E4C: 923C0684
	v_add_u32_e32 v1, s60, v1                                  // 000000004E50: 6802023C
	v_add_u32_e32 v2, s60, v2                                  // 000000004E54: 6804043C
	v_add_u32_e32 v3, s60, v3                                  // 000000004E58: 6806063C
	s_mov_b32 m0, s74                                          // 000000004E5C: BEFC004A
	buffer_load_dwordx4 v1, s[12:15], 0 idxen lds              // 000000004E60: E05D2000 80030001
	s_mov_b32 m0, s75                                          // 000000004E68: BEFC004B
	buffer_load_dword v2, s[12:15], 0 idxen lds                // 000000004E6C: E0512000 80030002
	s_mov_b32 m0, s76                                          // 000000004E74: BEFC004C
	buffer_load_dword v3, s[12:15], 0 idxen lds                // 000000004E78: E0512000 80030003
	s_add_u32 s74, 0x1800, s74                                 // 000000004E80: 804A4AFF 00001800
	s_add_u32 s75, 0x1800, s75                                 // 000000004E88: 804B4BFF 00001800
	s_add_u32 s76, 0x1800, s76                                 // 000000004E90: 804C4CFF 00001800
	s_mul_i32 s60, 4, s6                                       // 000000004E98: 923C0684
	v_add_u32_e32 v1, s60, v1                                  // 000000004E9C: 6802023C
	v_add_u32_e32 v2, s60, v2                                  // 000000004EA0: 6804043C
	v_add_u32_e32 v3, s60, v3                                  // 000000004EA4: 6806063C
	s_lshr_b32 s60, s46, 1                                     // 000000004EA8: 8F3C812E
	s_lshl_b32 s60, s60, 8                                     // 000000004EAC: 8E3C883C
	s_add_u32 s74, 0x9300, s60                                 // 000000004EB0: 804A3CFF 00009300
	s_add_u32 s75, 0x200, s74                                  // 000000004EB8: 804B4AFF 00000200
	s_add_u32 s76, 0x200, s75                                  // 000000004EC0: 804C4BFF 00000200
	s_mul_i32 s60, s46, 0x400                                  // 000000004EC8: 923CFF2E 00000400
	s_add_u32 s86, 0x4800, s60                                 // 000000004ED0: 80563CFF 00004800
	s_add_u32 s87, 0x1000, s86                                 // 000000004ED8: 805756FF 00001000
	s_add_u32 s88, 0x1000, s87                                 // 000000004EE0: 805857FF 00001000
	s_mul_i32 s61, s46, 0x100                                  // 000000004EE8: 923DFF2E 00000100
	s_add_u32 s77, 0, s60                                      // 000000004EF0: 804D3C80
	s_add_u32 s78, 0, s61                                      // 000000004EF4: 804E3D80
	s_add_u32 s78, 0x1000, s78                                 // 000000004EF8: 804E4EFF 00001000
	s_add_u32 s79, 0x400, s78                                  // 000000004F00: 804F4EFF 00000400
	s_add_u32 s80, 0x1800, s77                                 // 000000004F08: 80504DFF 00001800
	s_add_u32 s81, 0x1800, s78                                 // 000000004F10: 80514EFF 00001800
	s_add_u32 s82, 0x1800, s79                                 // 000000004F18: 80524FFF 00001800
	s_add_u32 s83, 0x1800, s80                                 // 000000004F20: 805350FF 00001800
	s_add_u32 s84, 0x1800, s81                                 // 000000004F28: 805451FF 00001800
	s_add_u32 s85, 0x1800, s82                                 // 000000004F30: 805552FF 00001800
	v_add_u32_e32 v17, 0xc000, v17                             // 000000004F38: 682222FF 0000C000
	v_add_u32_e32 v19, 0xc000, v19                             // 000000004F40: 682626FF 0000C000
	v_add_u32_e32 v20, 0xc000, v20                             // 000000004F48: 682828FF 0000C000
	v_add_u32_e32 v21, 0xc000, v21                             // 000000004F50: 682A2AFF 0000C000
	s_mov_b32 s71, s5                                          // 000000004F58: BEC70005
	v_and_b32_e32 v32, 3, v0                                   // 000000004F5C: 26400083
	v_and_b32_e32 v33, 1, v32                                  // 000000004F60: 26424081
	v_lshrrev_b32_e32 v34, 1, v32                              // 000000004F64: 20444081
	v_lshrrev_b32_e32 v32, 5, v0                               // 000000004F68: 20400085
	v_xor_b32_e32 v34, v34, v32                                // 000000004F6C: 2A444122
	v_lshlrev_b32_e32 v34, 1, v34                              // 000000004F70: 24444481
	v_add_u32_e32 v33, v34, v33                                // 000000004F74: 68424322
	v_lshlrev_b32_e32 v33, 4, v33                              // 000000004F78: 24424284
	v_lshrrev_b32_e32 v32, 2, v0                               // 000000004F7C: 20400082
	v_mul_i32_i24_e32 v32, s71, v32                            // 000000004F80: 0C404047
	v_add_u32_e32 v1, v32, v33                                 // 000000004F84: 68024320
	s_mul_i32 s60, s46, 64                                     // 000000004F88: 923CC02E
	v_add_u32_e32 v1, s60, v1                                  // 000000004F8C: 6802023C
	v_and_b32_e32 v32, 7, v0                                   // 000000004F90: 26400087
	v_lshrrev_b32_e32 v33, 3, v0                               // 000000004F94: 20420083
	v_and_b32_e32 v33, 1, v33                                  // 000000004F98: 26424281
	s_lshr_b32 s60, s46, 1                                     // 000000004F9C: 8F3C812E
	v_xor_b32_e64 v33, v33, s60                                // 000000004FA0: D1150021 00007921
	v_lshlrev_b32_e32 v33, 3, v33                              // 000000004FA8: 24424283
	v_add_u32_e32 v32, v32, v33                                // 000000004FAC: 68404320
	v_lshlrev_b32_e32 v32, 2, v32                              // 000000004FB0: 24404082
	s_mul_i32 s60, s46, 4                                      // 000000004FB4: 923C842E
	v_lshrrev_b32_e32 v33, 4, v0                               // 000000004FB8: 20420084
	v_add_u32_e64 v33, v33, s60                                // 000000004FBC: D1340021 00007921
	v_mul_i32_i24_e32 v33, s71, v33                            // 000000004FC4: 0C424247
	v_add_u32_e32 v2, v32, v33                                 // 000000004FC8: 68044320
	s_mov_b32 s60, 0x100                                       // 000000004FCC: BEBC00FF 00000100
	v_add_u32_e64 v2, v2, s60                                  // 000000004FD4: D1340002 00007902
	v_add_u32_e64 v3, v2, 64                                   // 000000004FDC: D1340003 00018102
	s_mov_b32 s71, s51                                         // 000000004FE4: BEC70033
	v_and_b32_e32 v32, 3, v0                                   // 000000004FE8: 26400083
	v_and_b32_e32 v33, 1, v32                                  // 000000004FEC: 26424081
	v_lshrrev_b32_e32 v34, 1, v32                              // 000000004FF0: 20444081
	v_lshrrev_b32_e32 v32, 5, v0                               // 000000004FF4: 20400085
	v_xor_b32_e32 v34, v34, v32                                // 000000004FF8: 2A444122
	v_lshlrev_b32_e32 v34, 1, v34                              // 000000004FFC: 24444481
	v_add_u32_e32 v33, v34, v33                                // 000000005000: 68424322
	v_lshlrev_b32_e32 v33, 4, v33                              // 000000005004: 24424284
	v_lshrrev_b32_e32 v32, 2, v0                               // 000000005008: 20400082
	v_mul_i32_i24_e32 v32, s71, v32                            // 00000000500C: 0C404047
	v_add_u32_e32 v4, v32, v33                                 // 000000005010: 68084320
	s_mul_i32 s60, s46, 64                                     // 000000005014: 923CC02E
	v_add_u32_e32 v4, s60, v4                                  // 000000005018: 6808083C
	v_lshrrev_b32_e32 v1, 2, v1                                // 00000000501C: 20020282
	v_lshrrev_b32_e32 v2, 2, v2                                // 000000005020: 20040482
	v_lshrrev_b32_e32 v3, 2, v3                                // 000000005024: 20060682
	;; [unrolled: 1-line block ×3, first 2 shown]
	s_mov_b32 m0, s77                                          // 00000000502C: BEFC004D
	buffer_load_dwordx4 v1, s[8:11], 0 idxen lds               // 000000005030: E05D2000 80020001
	s_mov_b32 m0, s78                                          // 000000005038: BEFC004E
	buffer_load_dword v2, s[8:11], 0 idxen lds                 // 00000000503C: E0512000 80020002
	s_mov_b32 m0, s79                                          // 000000005044: BEFC004F
	buffer_load_dword v3, s[8:11], 0 idxen lds                 // 000000005048: E0512000 80020003
	s_mov_b32 m0, s86                                          // 000000005050: BEFC0056
	buffer_load_dwordx4 v4, s[20:23], 0 idxen lds              // 000000005054: E05D2000 80050004
	s_mov_b32 m0, s74                                          // 00000000505C: BEFC004A
	buffer_load_dword v11, s[24:27], 0 idxen lds               // 000000005060: E0512000 8006000B
	v_add_u32_e32 v1, s68, v1                                  // 000000005068: 68020244
	v_add_u32_e32 v2, s68, v2                                  // 00000000506C: 68040444
	v_add_u32_e32 v3, s68, v3                                  // 000000005070: 68060644
	v_add_u32_e32 v4, s97, v4                                  // 000000005074: 68080861
	v_add_u32_e32 v11, s69, v11                                // 000000005078: 68161645
	s_mov_b32 m0, s80                                          // 00000000507C: BEFC0050
	buffer_load_dwordx4 v1, s[8:11], 0 idxen lds               // 000000005080: E05D2000 80020001
	s_mov_b32 m0, s81                                          // 000000005088: BEFC0051
	buffer_load_dword v2, s[8:11], 0 idxen lds                 // 00000000508C: E0512000 80020002
	s_mov_b32 m0, s82                                          // 000000005094: BEFC0052
	buffer_load_dword v3, s[8:11], 0 idxen lds                 // 000000005098: E0512000 80020003
	s_mov_b32 m0, s87                                          // 0000000050A0: BEFC0057
	buffer_load_dwordx4 v4, s[20:23], 0 idxen lds              // 0000000050A4: E05D2000 80050004
	s_mov_b32 m0, s75                                          // 0000000050AC: BEFC004B
	buffer_load_dword v11, s[24:27], 0 idxen lds               // 0000000050B0: E0512000 8006000B
	v_add_u32_e32 v1, s68, v1                                  // 0000000050B8: 68020244
	v_add_u32_e32 v2, s68, v2                                  // 0000000050BC: 68040444
	v_add_u32_e32 v3, s68, v3                                  // 0000000050C0: 68060644
	v_add_u32_e32 v4, s97, v4                                  // 0000000050C4: 68080861
	v_add_u32_e32 v11, s69, v11                                // 0000000050C8: 68161645
	s_waitcnt vmcnt(5) lgkmcnt(0)                              // 0000000050CC: BF8C0075
	s_barrier                                                  // 0000000050D0: BF8A0000
	ds_read_b128 v[224:227], v12                               // 0000000050D4: D9FE0000 E000000C
	ds_read_b128 v[228:231], v12 offset:1024                   // 0000000050DC: D9FE0400 E400000C
	ds_read_b128 v[232:235], v12 offset:2048                   // 0000000050E4: D9FE0800 E800000C
	ds_read_b128 v[236:239], v12 offset:3072                   // 0000000050EC: D9FE0C00 EC00000C
	ds_read_b128 v[240:243], v12 offset:4096                   // 0000000050F4: D9FE1000 F000000C
	ds_read_b128 v[244:247], v12 offset:5120                   // 0000000050FC: D9FE1400 F400000C
	ds_read_b32 v104, v16 offset:37632                         // 000000005104: D86C9300 68000010
	ds_read_b32 v126, v16 offset:37888                         // 00000000510C: D86C9400 7E000010
	ds_read_b128 a[0:3], v17                                   // 000000005114: DBFE0000 00000011
	ds_read_b128 a[4:7], v17 offset:1024                       // 00000000511C: DBFE0400 04000011
	ds_read_b128 a[8:11], v17 offset:2048                      // 000000005124: DBFE0800 08000011
	ds_read_b128 a[12:15], v17 offset:3072                     // 00000000512C: DBFE0C00 0C000011
	ds_read_b128 a[16:19], v17 offset:4096                     // 000000005134: DBFE1000 10000011
	ds_read_b128 a[20:23], v17 offset:5120                     // 00000000513C: DBFE1400 14000011
	ds_read_b128 a[24:27], v17 offset:24576                    // 000000005144: DBFE6000 18000011
	ds_read_b128 a[28:31], v17 offset:25600                    // 00000000514C: DBFE6400 1C000011
	ds_read_b128 a[32:35], v17 offset:26624                    // 000000005154: DBFE6800 20000011
	ds_read_b128 a[36:39], v17 offset:27648                    // 00000000515C: DBFE6C00 24000011
	ds_read_b128 a[40:43], v17 offset:28672                    // 000000005164: DBFE7000 28000011
	ds_read_b128 a[44:47], v17 offset:29696                    // 00000000516C: DBFE7400 2C000011
	v_accvgpr_write_b32 a112, 0                                // 000000005174: D3D94070 18000080
	v_accvgpr_write_b32 a113, 0                                // 00000000517C: D3D94071 18000080
	v_accvgpr_write_b32 a114, 0                                // 000000005184: D3D94072 18000080
	v_accvgpr_write_b32 a115, 0                                // 00000000518C: D3D94073 18000080
	v_accvgpr_write_b32 a116, 0                                // 000000005194: D3D94074 18000080
	v_accvgpr_write_b32 a117, 0                                // 00000000519C: D3D94075 18000080
	v_accvgpr_write_b32 a118, 0                                // 0000000051A4: D3D94076 18000080
	v_accvgpr_write_b32 a119, 0                                // 0000000051AC: D3D94077 18000080
	v_accvgpr_write_b32 a120, 0                                // 0000000051B4: D3D94078 18000080
	v_accvgpr_write_b32 a121, 0                                // 0000000051BC: D3D94079 18000080
	v_accvgpr_write_b32 a122, 0                                // 0000000051C4: D3D9407A 18000080
	v_accvgpr_write_b32 a123, 0                                // 0000000051CC: D3D9407B 18000080
	v_accvgpr_write_b32 a124, 0                                // 0000000051D4: D3D9407C 18000080
	v_accvgpr_write_b32 a125, 0                                // 0000000051DC: D3D9407D 18000080
	v_accvgpr_write_b32 a126, 0                                // 0000000051E4: D3D9407E 18000080
	v_accvgpr_write_b32 a127, 0                                // 0000000051EC: D3D9407F 18000080
	v_accvgpr_write_b32 a128, 0                                // 0000000051F4: D3D94080 18000080
	v_accvgpr_write_b32 a129, 0                                // 0000000051FC: D3D94081 18000080
	v_accvgpr_write_b32 a130, 0                                // 000000005204: D3D94082 18000080
	v_accvgpr_write_b32 a131, 0                                // 00000000520C: D3D94083 18000080
	v_accvgpr_write_b32 a132, 0                                // 000000005214: D3D94084 18000080
	v_accvgpr_write_b32 a133, 0                                // 00000000521C: D3D94085 18000080
	v_accvgpr_write_b32 a134, 0                                // 000000005224: D3D94086 18000080
	v_accvgpr_write_b32 a135, 0                                // 00000000522C: D3D94087 18000080
	v_accvgpr_write_b32 a136, 0                                // 000000005234: D3D94088 18000080
	v_accvgpr_write_b32 a137, 0                                // 00000000523C: D3D94089 18000080
	v_accvgpr_write_b32 a138, 0                                // 000000005244: D3D9408A 18000080
	v_accvgpr_write_b32 a139, 0                                // 00000000524C: D3D9408B 18000080
	v_accvgpr_write_b32 a140, 0                                // 000000005254: D3D9408C 18000080
	v_accvgpr_write_b32 a141, 0                                // 00000000525C: D3D9408D 18000080
	v_accvgpr_write_b32 a142, 0                                // 000000005264: D3D9408E 18000080
	v_accvgpr_write_b32 a143, 0                                // 00000000526C: D3D9408F 18000080
	v_accvgpr_write_b32 a144, 0                                // 000000005274: D3D94090 18000080
	v_accvgpr_write_b32 a145, 0                                // 00000000527C: D3D94091 18000080
	v_accvgpr_write_b32 a146, 0                                // 000000005284: D3D94092 18000080
	v_accvgpr_write_b32 a147, 0                                // 00000000528C: D3D94093 18000080
	v_accvgpr_write_b32 a148, 0                                // 000000005294: D3D94094 18000080
	v_accvgpr_write_b32 a149, 0                                // 00000000529C: D3D94095 18000080
	v_accvgpr_write_b32 a150, 0                                // 0000000052A4: D3D94096 18000080
	v_accvgpr_write_b32 a151, 0                                // 0000000052AC: D3D94097 18000080
	v_accvgpr_write_b32 a152, 0                                // 0000000052B4: D3D94098 18000080
	v_accvgpr_write_b32 a153, 0                                // 0000000052BC: D3D94099 18000080
	v_accvgpr_write_b32 a154, 0                                // 0000000052C4: D3D9409A 18000080
	v_accvgpr_write_b32 a155, 0                                // 0000000052CC: D3D9409B 18000080
	v_accvgpr_write_b32 a156, 0                                // 0000000052D4: D3D9409C 18000080
	v_accvgpr_write_b32 a157, 0                                // 0000000052DC: D3D9409D 18000080
	v_accvgpr_write_b32 a158, 0                                // 0000000052E4: D3D9409E 18000080
	v_accvgpr_write_b32 a159, 0                                // 0000000052EC: D3D9409F 18000080
	v_accvgpr_write_b32 a160, 0                                // 0000000052F4: D3D940A0 18000080
	v_accvgpr_write_b32 a161, 0                                // 0000000052FC: D3D940A1 18000080
	v_accvgpr_write_b32 a162, 0                                // 000000005304: D3D940A2 18000080
	v_accvgpr_write_b32 a163, 0                                // 00000000530C: D3D940A3 18000080
	v_accvgpr_write_b32 a164, 0                                // 000000005314: D3D940A4 18000080
	v_accvgpr_write_b32 a165, 0                                // 00000000531C: D3D940A5 18000080
	v_accvgpr_write_b32 a166, 0                                // 000000005324: D3D940A6 18000080
	v_accvgpr_write_b32 a167, 0                                // 00000000532C: D3D940A7 18000080
	v_accvgpr_write_b32 a168, 0                                // 000000005334: D3D940A8 18000080
	v_accvgpr_write_b32 a169, 0                                // 00000000533C: D3D940A9 18000080
	v_accvgpr_write_b32 a170, 0                                // 000000005344: D3D940AA 18000080
	v_accvgpr_write_b32 a171, 0                                // 00000000534C: D3D940AB 18000080
	v_accvgpr_write_b32 a172, 0                                // 000000005354: D3D940AC 18000080
	v_accvgpr_write_b32 a173, 0                                // 00000000535C: D3D940AD 18000080
	v_accvgpr_write_b32 a174, 0                                // 000000005364: D3D940AE 18000080
	v_accvgpr_write_b32 a175, 0                                // 00000000536C: D3D940AF 18000080
	v_accvgpr_write_b32 a176, 0                                // 000000005374: D3D940B0 18000080
	v_accvgpr_write_b32 a177, 0                                // 00000000537C: D3D940B1 18000080
	v_accvgpr_write_b32 a178, 0                                // 000000005384: D3D940B2 18000080
	v_accvgpr_write_b32 a179, 0                                // 00000000538C: D3D940B3 18000080
	v_accvgpr_write_b32 a180, 0                                // 000000005394: D3D940B4 18000080
	v_accvgpr_write_b32 a181, 0                                // 00000000539C: D3D940B5 18000080
	v_accvgpr_write_b32 a182, 0                                // 0000000053A4: D3D940B6 18000080
	v_accvgpr_write_b32 a183, 0                                // 0000000053AC: D3D940B7 18000080
	v_accvgpr_write_b32 a184, 0                                // 0000000053B4: D3D940B8 18000080
	v_accvgpr_write_b32 a185, 0                                // 0000000053BC: D3D940B9 18000080
	v_accvgpr_write_b32 a186, 0                                // 0000000053C4: D3D940BA 18000080
	v_accvgpr_write_b32 a187, 0                                // 0000000053CC: D3D940BB 18000080
	v_accvgpr_write_b32 a188, 0                                // 0000000053D4: D3D940BC 18000080
	v_accvgpr_write_b32 a189, 0                                // 0000000053DC: D3D940BD 18000080
	v_accvgpr_write_b32 a190, 0                                // 0000000053E4: D3D940BE 18000080
	v_accvgpr_write_b32 a191, 0                                // 0000000053EC: D3D940BF 18000080
	v_accvgpr_write_b32 a192, 0                                // 0000000053F4: D3D940C0 18000080
	v_accvgpr_write_b32 a193, 0                                // 0000000053FC: D3D940C1 18000080
	v_accvgpr_write_b32 a194, 0                                // 000000005404: D3D940C2 18000080
	v_accvgpr_write_b32 a195, 0                                // 00000000540C: D3D940C3 18000080
	v_accvgpr_write_b32 a196, 0                                // 000000005414: D3D940C4 18000080
	v_accvgpr_write_b32 a197, 0                                // 00000000541C: D3D940C5 18000080
	v_accvgpr_write_b32 a198, 0                                // 000000005424: D3D940C6 18000080
	v_accvgpr_write_b32 a199, 0                                // 00000000542C: D3D940C7 18000080
	v_accvgpr_write_b32 a200, 0                                // 000000005434: D3D940C8 18000080
	v_accvgpr_write_b32 a201, 0                                // 00000000543C: D3D940C9 18000080
	v_accvgpr_write_b32 a202, 0                                // 000000005444: D3D940CA 18000080
	v_accvgpr_write_b32 a203, 0                                // 00000000544C: D3D940CB 18000080
	v_accvgpr_write_b32 a204, 0                                // 000000005454: D3D940CC 18000080
	v_accvgpr_write_b32 a205, 0                                // 00000000545C: D3D940CD 18000080
	v_accvgpr_write_b32 a206, 0                                // 000000005464: D3D940CE 18000080
	v_accvgpr_write_b32 a207, 0                                // 00000000546C: D3D940CF 18000080
	v_accvgpr_write_b32 a208, 0                                // 000000005474: D3D940D0 18000080
	v_accvgpr_write_b32 a209, 0                                // 00000000547C: D3D940D1 18000080
	v_accvgpr_write_b32 a210, 0                                // 000000005484: D3D940D2 18000080
	v_accvgpr_write_b32 a211, 0                                // 00000000548C: D3D940D3 18000080
	v_accvgpr_write_b32 a212, 0                                // 000000005494: D3D940D4 18000080
	v_accvgpr_write_b32 a213, 0                                // 00000000549C: D3D940D5 18000080
	v_accvgpr_write_b32 a214, 0                                // 0000000054A4: D3D940D6 18000080
	v_accvgpr_write_b32 a215, 0                                // 0000000054AC: D3D940D7 18000080
	v_accvgpr_write_b32 a216, 0                                // 0000000054B4: D3D940D8 18000080
	v_accvgpr_write_b32 a217, 0                                // 0000000054BC: D3D940D9 18000080
	v_accvgpr_write_b32 a218, 0                                // 0000000054C4: D3D940DA 18000080
	v_accvgpr_write_b32 a219, 0                                // 0000000054CC: D3D940DB 18000080
	v_accvgpr_write_b32 a220, 0                                // 0000000054D4: D3D940DC 18000080
	v_accvgpr_write_b32 a221, 0                                // 0000000054DC: D3D940DD 18000080
	v_accvgpr_write_b32 a222, 0                                // 0000000054E4: D3D940DE 18000080
	v_accvgpr_write_b32 a223, 0                                // 0000000054EC: D3D940DF 18000080
	v_accvgpr_write_b32 a224, 0                                // 0000000054F4: D3D940E0 18000080
	v_accvgpr_write_b32 a225, 0                                // 0000000054FC: D3D940E1 18000080
	v_accvgpr_write_b32 a226, 0                                // 000000005504: D3D940E2 18000080
	v_accvgpr_write_b32 a227, 0                                // 00000000550C: D3D940E3 18000080
	v_accvgpr_write_b32 a228, 0                                // 000000005514: D3D940E4 18000080
	v_accvgpr_write_b32 a229, 0                                // 00000000551C: D3D940E5 18000080
	v_accvgpr_write_b32 a230, 0                                // 000000005524: D3D940E6 18000080
	v_accvgpr_write_b32 a231, 0                                // 00000000552C: D3D940E7 18000080
	v_accvgpr_write_b32 a232, 0                                // 000000005534: D3D940E8 18000080
	v_accvgpr_write_b32 a233, 0                                // 00000000553C: D3D940E9 18000080
	v_accvgpr_write_b32 a234, 0                                // 000000005544: D3D940EA 18000080
	v_accvgpr_write_b32 a235, 0                                // 00000000554C: D3D940EB 18000080
	v_accvgpr_write_b32 a236, 0                                // 000000005554: D3D940EC 18000080
	v_accvgpr_write_b32 a237, 0                                // 00000000555C: D3D940ED 18000080
	v_accvgpr_write_b32 a238, 0                                // 000000005564: D3D940EE 18000080
	v_accvgpr_write_b32 a239, 0                                // 00000000556C: D3D940EF 18000080
	v_accvgpr_write_b32 a240, 0                                // 000000005574: D3D940F0 18000080
	v_accvgpr_write_b32 a241, 0                                // 00000000557C: D3D940F1 18000080
	v_accvgpr_write_b32 a242, 0                                // 000000005584: D3D940F2 18000080
	v_accvgpr_write_b32 a243, 0                                // 00000000558C: D3D940F3 18000080
	v_accvgpr_write_b32 a244, 0                                // 000000005594: D3D940F4 18000080
	v_accvgpr_write_b32 a245, 0                                // 00000000559C: D3D940F5 18000080
	v_accvgpr_write_b32 a246, 0                                // 0000000055A4: D3D940F6 18000080
	v_accvgpr_write_b32 a247, 0                                // 0000000055AC: D3D940F7 18000080
	v_accvgpr_write_b32 a248, 0                                // 0000000055B4: D3D940F8 18000080
	v_accvgpr_write_b32 a249, 0                                // 0000000055BC: D3D940F9 18000080
	v_accvgpr_write_b32 a250, 0                                // 0000000055C4: D3D940FA 18000080
	v_accvgpr_write_b32 a251, 0                                // 0000000055CC: D3D940FB 18000080
	v_accvgpr_write_b32 a252, 0                                // 0000000055D4: D3D940FC 18000080
	v_accvgpr_write_b32 a253, 0                                // 0000000055DC: D3D940FD 18000080
	v_accvgpr_write_b32 a254, 0                                // 0000000055E4: D3D940FE 18000080
	v_accvgpr_write_b32 a255, 0                                // 0000000055EC: D3D940FF 18000080
	v_mov_b32_e32 v128, 0                                      // 0000000055F4: 7F000280
	v_mov_b32_e32 v129, 0                                      // 0000000055F8: 7F020280
	v_mov_b32_e32 v130, 0                                      // 0000000055FC: 7F040280
	v_mov_b32_e32 v131, 0                                      // 000000005600: 7F060280
	v_mov_b32_e32 v132, 0                                      // 000000005604: 7F080280
	v_mov_b32_e32 v133, 0                                      // 000000005608: 7F0A0280
	v_mov_b32_e32 v134, 0                                      // 00000000560C: 7F0C0280
	v_mov_b32_e32 v135, 0                                      // 000000005610: 7F0E0280
	v_mov_b32_e32 v136, 0                                      // 000000005614: 7F100280
	v_mov_b32_e32 v137, 0                                      // 000000005618: 7F120280
	v_mov_b32_e32 v138, 0                                      // 00000000561C: 7F140280
	v_mov_b32_e32 v139, 0                                      // 000000005620: 7F160280
	v_mov_b32_e32 v140, 0                                      // 000000005624: 7F180280
	v_mov_b32_e32 v141, 0                                      // 000000005628: 7F1A0280
	v_mov_b32_e32 v142, 0                                      // 00000000562C: 7F1C0280
	v_mov_b32_e32 v143, 0                                      // 000000005630: 7F1E0280
	v_mov_b32_e32 v144, 0                                      // 000000005634: 7F200280
	v_mov_b32_e32 v145, 0                                      // 000000005638: 7F220280
	v_mov_b32_e32 v146, 0                                      // 00000000563C: 7F240280
	v_mov_b32_e32 v147, 0                                      // 000000005640: 7F260280
	v_mov_b32_e32 v148, 0                                      // 000000005644: 7F280280
	v_mov_b32_e32 v149, 0                                      // 000000005648: 7F2A0280
	v_mov_b32_e32 v150, 0                                      // 00000000564C: 7F2C0280
	v_mov_b32_e32 v151, 0                                      // 000000005650: 7F2E0280
	v_mov_b32_e32 v152, 0                                      // 000000005654: 7F300280
	v_mov_b32_e32 v153, 0                                      // 000000005658: 7F320280
	v_mov_b32_e32 v154, 0                                      // 00000000565C: 7F340280
	v_mov_b32_e32 v155, 0                                      // 000000005660: 7F360280
	v_mov_b32_e32 v156, 0                                      // 000000005664: 7F380280
	v_mov_b32_e32 v157, 0                                      // 000000005668: 7F3A0280
	v_mov_b32_e32 v158, 0                                      // 00000000566C: 7F3C0280
	v_mov_b32_e32 v159, 0                                      // 000000005670: 7F3E0280
	v_mov_b32_e32 v160, 0                                      // 000000005674: 7F400280
	v_mov_b32_e32 v161, 0                                      // 000000005678: 7F420280
	v_mov_b32_e32 v162, 0                                      // 00000000567C: 7F440280
	v_mov_b32_e32 v163, 0                                      // 000000005680: 7F460280
	v_mov_b32_e32 v164, 0                                      // 000000005684: 7F480280
	v_mov_b32_e32 v165, 0                                      // 000000005688: 7F4A0280
	v_mov_b32_e32 v166, 0                                      // 00000000568C: 7F4C0280
	v_mov_b32_e32 v167, 0                                      // 000000005690: 7F4E0280
	v_mov_b32_e32 v168, 0                                      // 000000005694: 7F500280
	v_mov_b32_e32 v169, 0                                      // 000000005698: 7F520280
	v_mov_b32_e32 v170, 0                                      // 00000000569C: 7F540280
	v_mov_b32_e32 v171, 0                                      // 0000000056A0: 7F560280
	v_mov_b32_e32 v172, 0                                      // 0000000056A4: 7F580280
	v_mov_b32_e32 v173, 0                                      // 0000000056A8: 7F5A0280
	v_mov_b32_e32 v174, 0                                      // 0000000056AC: 7F5C0280
	v_mov_b32_e32 v175, 0                                      // 0000000056B0: 7F5E0280
	v_mov_b32_e32 v176, 0                                      // 0000000056B4: 7F600280
	v_mov_b32_e32 v177, 0                                      // 0000000056B8: 7F620280
	v_mov_b32_e32 v178, 0                                      // 0000000056BC: 7F640280
	v_mov_b32_e32 v179, 0                                      // 0000000056C0: 7F660280
	v_mov_b32_e32 v180, 0                                      // 0000000056C4: 7F680280
	v_mov_b32_e32 v181, 0                                      // 0000000056C8: 7F6A0280
	v_mov_b32_e32 v182, 0                                      // 0000000056CC: 7F6C0280
	v_mov_b32_e32 v183, 0                                      // 0000000056D0: 7F6E0280
	v_mov_b32_e32 v184, 0                                      // 0000000056D4: 7F700280
	v_mov_b32_e32 v185, 0                                      // 0000000056D8: 7F720280
	v_mov_b32_e32 v186, 0                                      // 0000000056DC: 7F740280
	v_mov_b32_e32 v187, 0                                      // 0000000056E0: 7F760280
	v_mov_b32_e32 v188, 0                                      // 0000000056E4: 7F780280
	v_mov_b32_e32 v189, 0                                      // 0000000056E8: 7F7A0280
	v_mov_b32_e32 v190, 0                                      // 0000000056EC: 7F7C0280
	v_mov_b32_e32 v191, 0                                      // 0000000056F0: 7F7E0280
	v_mov_b32_e32 v192, 0                                      // 0000000056F4: 7F800280
	v_mov_b32_e32 v193, 0                                      // 0000000056F8: 7F820280
	v_mov_b32_e32 v194, 0                                      // 0000000056FC: 7F840280
	v_mov_b32_e32 v195, 0                                      // 000000005700: 7F860280
	v_mov_b32_e32 v196, 0                                      // 000000005704: 7F880280
	v_mov_b32_e32 v197, 0                                      // 000000005708: 7F8A0280
	v_mov_b32_e32 v198, 0                                      // 00000000570C: 7F8C0280
	v_mov_b32_e32 v199, 0                                      // 000000005710: 7F8E0280
	v_mov_b32_e32 v200, 0                                      // 000000005714: 7F900280
	v_mov_b32_e32 v201, 0                                      // 000000005718: 7F920280
	v_mov_b32_e32 v202, 0                                      // 00000000571C: 7F940280
	v_mov_b32_e32 v203, 0                                      // 000000005720: 7F960280
	v_mov_b32_e32 v204, 0                                      // 000000005724: 7F980280
	v_mov_b32_e32 v205, 0                                      // 000000005728: 7F9A0280
	v_mov_b32_e32 v206, 0                                      // 00000000572C: 7F9C0280
	v_mov_b32_e32 v207, 0                                      // 000000005730: 7F9E0280
	v_mov_b32_e32 v208, 0                                      // 000000005734: 7FA00280
	v_mov_b32_e32 v209, 0                                      // 000000005738: 7FA20280
	v_mov_b32_e32 v210, 0                                      // 00000000573C: 7FA40280
	v_mov_b32_e32 v211, 0                                      // 000000005740: 7FA60280
	v_mov_b32_e32 v212, 0                                      // 000000005744: 7FA80280
	v_mov_b32_e32 v213, 0                                      // 000000005748: 7FAA0280
	v_mov_b32_e32 v214, 0                                      // 00000000574C: 7FAC0280
	v_mov_b32_e32 v215, 0                                      // 000000005750: 7FAE0280
	v_mov_b32_e32 v216, 0                                      // 000000005754: 7FB00280
	v_mov_b32_e32 v217, 0                                      // 000000005758: 7FB20280
	v_mov_b32_e32 v218, 0                                      // 00000000575C: 7FB40280
	v_mov_b32_e32 v219, 0                                      // 000000005760: 7FB60280
	v_mov_b32_e32 v220, 0                                      // 000000005764: 7FB80280
	v_mov_b32_e32 v221, 0                                      // 000000005768: 7FBA0280
	v_mov_b32_e32 v222, 0                                      // 00000000576C: 7FBC0280
	v_mov_b32_e32 v223, 0                                      // 000000005770: 7FBE0280
	v_mov_b32_e32 v108, 0                                      // 000000005774: 7ED80280
	v_mov_b32_e32 v109, 0                                      // 000000005778: 7EDA0280
	v_mov_b32_e32 v110, 0                                      // 00000000577C: 7EDC0280
	v_mov_b32_e32 v111, 0                                      // 000000005780: 7EDE0280
	v_mov_b32_e32 v112, 0                                      // 000000005784: 7EE00280
	v_mov_b32_e32 v113, 0                                      // 000000005788: 7EE20280
	v_mov_b32_e32 v114, 0                                      // 00000000578C: 7EE40280
	v_mov_b32_e32 v115, 0                                      // 000000005790: 7EE60280
	v_mov_b32_e32 v116, 0                                      // 000000005794: 7EE80280
	v_mov_b32_e32 v117, 0                                      // 000000005798: 7EEA0280
	v_mov_b32_e32 v118, 0                                      // 00000000579C: 7EEC0280
	v_mov_b32_e32 v119, 0                                      // 0000000057A0: 7EEE0280
	s_waitcnt vmcnt(0) lgkmcnt(0)                              // 0000000057A4: BF8C0070
	s_barrier                                                  // 0000000057A8: BF8A0000
	s_mov_b32 m0, s83                                          // 0000000057AC: BEFC0053
	buffer_load_dwordx4 v1, s[8:11], 0 idxen lds               // 0000000057B0: E05D2000 80020001
	s_mov_b32 m0, s84                                          // 0000000057B8: BEFC0054
	buffer_load_dword v2, s[8:11], 0 idxen lds                 // 0000000057BC: E0512000 80020002
	s_mov_b32 m0, s85                                          // 0000000057C4: BEFC0055
	buffer_load_dword v3, s[8:11], 0 idxen lds                 // 0000000057C8: E0512000 80020003
	s_mov_b32 m0, s88                                          // 0000000057D0: BEFC0058
	buffer_load_dwordx4 v4, s[20:23], 0 idxen lds              // 0000000057D4: E05D2000 80050004
	s_mov_b32 m0, s76                                          // 0000000057DC: BEFC004C
	buffer_load_dword v11, s[24:27], 0 idxen lds               // 0000000057E0: E0512000 8006000B
	v_mul_f32_e32 v104, s48, v104                              // 0000000057E8: 0AD0D030
	v_add_u32_e32 v1, s68, v1                                  // 0000000057EC: 68020244
	v_add_u32_e32 v2, s68, v2                                  // 0000000057F0: 68040444
	v_add_u32_e32 v3, s68, v3                                  // 0000000057F4: 68060644
	v_add_u32_e32 v4, s97, v4                                  // 0000000057F8: 68080861
	v_add_u32_e32 v11, s69, v11                                // 0000000057FC: 68161645
	v_mov_b32_dpp v107, v104 quad_perm:[3,3,3,3] row_mask:0xf bank_mask:0xf// 000000005800: 7ED602FA FF00FF68
	v_mov_b32_dpp v106, v104 quad_perm:[2,2,2,2] row_mask:0xf bank_mask:0xf// 000000005808: 7ED402FA FF00AA68
	v_mov_b32_dpp v105, v104 quad_perm:[1,1,1,1] row_mask:0xf bank_mask:0xf// 000000005810: 7ED202FA FF005568
	v_mov_b32_dpp v104, v104 quad_perm:[0,0,0,0] row_mask:0xf bank_mask:0xf// 000000005818: 7ED002FA FF000068
	s_cmp_lt_i32 s46, 2                                        // 000000005820: BF04822E
	s_cbranch_scc0 label_0DBA                                  // 000000005824: BF8407A1
	s_nop 0                                                    // 000000005828: BF800000
	s_nop 0                                                    // 00000000582C: BF800000

0000000000005830 <label_060C>:
	s_waitcnt lgkmcnt(2)                                       // 000000005830: BF8CC27F
	v_mfma_f32_16x16x32_bf16 v[36:39], v[224:227], a[0:3], 0   // 000000005834: D3B50024 120201E0
	ds_read_b128 a[48:51], v17 offset:49152                    // 00000000583C: DBFEC000 30000011
	ds_read_b128 a[52:55], v17 offset:50176                    // 000000005844: DBFEC400 34000011
	v_mfma_f32_16x16x32_bf16 v[36:39], v[228:231], a[4:7], v[36:39]// 00000000584C: D3B50024 149209E4
	v_add_u32_e32 v7, s66, v7                                  // 000000005854: 680E0E42
	v_add_u32_e32 v8, s66, v8                                  // 000000005858: 68101042
	v_add_u32_e32 v9, s66, v9                                  // 00000000585C: 68121242
	v_mfma_f32_16x16x32_bf16 v[36:39], v[232:235], a[8:11], v[36:39]// 000000005860: D3B50024 149211E8
	ds_read_b128 a[56:59], v17 offset:51200                    // 000000005868: DBFEC800 38000011
	ds_read_b128 a[60:63], v17 offset:52224                    // 000000005870: DBFECC00 3C000011
	v_mfma_f32_16x16x32_bf16 v[36:39], v[236:239], a[12:15], v[36:39]// 000000005878: D3B50024 149219EC
	v_cvt_pk_bf16_f32 v108, v108, v109                         // 000000005880: D268006C 0002DB6C
	v_cvt_pk_bf16_f32 v109, v110, v111                         // 000000005888: D268006D 0002DF6E
	v_mfma_f32_16x16x32_bf16 v[36:39], v[240:243], a[16:19], v[36:39]// 000000005890: D3B50024 149221F0
	ds_read_b128 v[248:251], v17 offset:53248                  // 000000005898: D9FED000 F8000011
	ds_read_b128 v[252:255], v17 offset:54272                  // 0000000058A0: D9FED400 FC000011
	v_mfma_f32_16x16x32_bf16 v[36:39], v[244:247], a[20:23], v[36:39]// 0000000058A8: D3B50024 149229F4
	v_mul_f32_e32 v114, s47, v114                              // 0000000058B0: 0AE4E42F
	v_mul_f32_e32 v115, s47, v115                              // 0000000058B4: 0AE6E62F
	v_mfma_f32_16x16x32_bf16 v[40:43], v[224:227], a[24:27], 0 // 0000000058B8: D3B50028 120231E0
	ds_read_b128 v[72:75], v12 offset:18432                    // 0000000058C0: D9FE4800 4800000C
	ds_read_b128 v[76:79], v12 offset:19456                    // 0000000058C8: D9FE4C00 4C00000C
	v_mfma_f32_16x16x32_bf16 v[40:43], v[228:231], a[28:31], v[40:43]// 0000000058D0: D3B50028 14A239E4
	v_mul_f32_e32 v116, s47, v116                              // 0000000058D8: 0AE8E82F
	v_mul_f32_e32 v117, s47, v117                              // 0000000058DC: 0AEAEA2F
	v_mfma_f32_16x16x32_bf16 v[40:43], v[232:235], a[32:35], v[40:43]// 0000000058E0: D3B50028 14A241E8
	ds_read_b128 v[80:83], v12 offset:20480                    // 0000000058E8: D9FE5000 5000000C
	ds_read_b128 v[84:87], v12 offset:21504                    // 0000000058F0: D9FE5400 5400000C
	v_mfma_f32_16x16x32_bf16 v[40:43], v[236:239], a[36:39], v[40:43]// 0000000058F8: D3B50028 14A249EC
	v_mul_f32_e32 v118, s47, v118                              // 000000005900: 0AECEC2F
	v_mul_f32_e32 v119, s47, v119                              // 000000005904: 0AEEEE2F
	v_cvt_pk_bf16_f32 v110, v112, v113                         // 000000005908: D268006E 0002E370
	v_cvt_pk_bf16_f32 v111, v114, v115                         // 000000005910: D268006F 0002E772
	s_waitcnt lgkmcnt(10)                                      // 000000005918: BF8CCA7F
	v_mfma_f32_16x16x32_bf16 v[40:43], v[240:243], a[40:43], v[40:43]// 00000000591C: D3B50028 14A251F0
	ds_read_b64_tr_b16 v[88:89], v13 offset:18432              // 000000005924: D9C64800 5800000D
	ds_read_b64_tr_b16 v[90:91], v13 offset:18688              // 00000000592C: D9C64900 5A00000D
	v_mfma_f32_16x16x32_bf16 v[40:43], v[244:247], a[44:47], v[40:43]// 000000005934: D3B50028 14A259F4
	v_fma_f32 v36, v36, s57, -v104                             // 00000000593C: D1CB0024 85A07324
	v_fma_f32 v37, v37, s57, -v105                             // 000000005944: D1CB0025 85A47325
	s_waitcnt lgkmcnt(10)                                      // 00000000594C: BF8CCA7F
	v_mfma_f32_16x16x32_bf16 v[44:47], v[224:227], a[48:51], 0 // 000000005950: D3B5002C 120261E0
	ds_read_b64_tr_b16 v[92:93], v13 offset:19456              // 000000005958: D9C64C00 5C00000D
	ds_read_b64_tr_b16 v[94:95], v13 offset:19712              // 000000005960: D9C64D00 5E00000D
	v_mfma_f32_16x16x32_bf16 v[44:47], v[228:231], a[52:55], v[44:47]// 000000005968: D3B5002C 14B269E4
	v_fma_f32 v38, v38, s57, -v106                             // 000000005970: D1CB0026 85A87326
	v_fma_f32 v39, v39, s57, -v107                             // 000000005978: D1CB0027 85AC7327
	s_waitcnt lgkmcnt(10)                                      // 000000005980: BF8CCA7F
	v_mfma_f32_16x16x32_bf16 v[44:47], v[232:235], a[56:59], v[44:47]// 000000005984: D3B5002C 14B271E8
	ds_read_b64_tr_b16 v[96:97], v13 offset:20480              // 00000000598C: D9C65000 6000000D
	ds_read_b64_tr_b16 v[98:99], v13 offset:20736              // 000000005994: D9C65100 6200000D
	v_mfma_f32_16x16x32_bf16 v[44:47], v[236:239], a[60:63], v[44:47]// 00000000599C: D3B5002C 14B279EC
	v_fma_f32 v40, v40, s57, -v104                             // 0000000059A4: D1CB0028 85A07328
	v_fma_f32 v41, v41, s57, -v105                             // 0000000059AC: D1CB0029 85A47329
	v_cvt_pk_bf16_f32 v112, v116, v117                         // 0000000059B4: D2680070 0002EB74
	v_cvt_pk_bf16_f32 v113, v118, v119                         // 0000000059BC: D2680071 0002EF76
	s_waitcnt lgkmcnt(10)                                      // 0000000059C4: BF8CCA7F
	v_mfma_f32_16x16x32_bf16 v[44:47], v[240:243], v[248:251], v[44:47]// 0000000059C8: D3B5002C 04B3F1F0
	ds_read_b64_tr_b16 v[100:101], v13 offset:21504            // 0000000059D0: D9C65400 6400000D
	ds_read_b64_tr_b16 v[102:103], v13 offset:21760            // 0000000059D8: D9C65500 6600000D
	v_mfma_f32_16x16x32_bf16 v[44:47], v[244:247], v[252:255], v[44:47]// 0000000059E0: D3B5002C 04B3F9F4
	v_fma_f32 v42, v42, s57, -v106                             // 0000000059E8: D1CB002A 85A8732A
	v_fma_f32 v43, v43, s57, -v107                             // 0000000059F0: D1CB002B 85AC732B
	s_cmp_lt_i32 s98, 0xc0                                     // 0000000059F8: BF04FF62 000000C0
	s_cbranch_scc0 label_06D3                                  // 000000005A00: BF84004D
	s_cmp_le_i32 s98, 64                                       // 000000005A04: BF05C062
	s_cbranch_scc1 label_068A                                  // 000000005A08: BF850007
	s_cmp_le_i32 s98, 0x80                                     // 000000005A0C: BF05FF62 00000080
	s_cbranch_scc1 label_06A2                                  // 000000005A14: BF850017
	s_cmp_lt_i32 s98, 0xc0                                     // 000000005A18: BF04FF62 000000C0
	s_cbranch_scc1 label_06BA                                  // 000000005A20: BF85002C
	s_branch label_06D3                                        // 000000005A24: BF820044

0000000000005a28 <label_068A>:
	s_mov_b32 s60, 0                                           // 000000005A28: BEBC0080
	v_and_b32_e32 v32, 15, v0                                  // 000000005A2C: 2640008F
	v_add_u32_e64 v32, v32, s60                                // 000000005A30: D1340020 00007920
	v_mul_i32_i24_e64 v33, s46, 16                             // 000000005A38: D1060021 0001202E
	v_add_u32_e32 v32, v32, v33                                // 000000005A40: 68404320
	v_cmp_lt_u32_e64 s[60:61], v32, s98                        // 000000005A44: D0C9003C 0000C520
	s_nop 1                                                    // 000000005A4C: BF800001
	v_cndmask_b32_e64 v36, v127, v36, s[60:61]                 // 000000005A50: D1000024 00F2497F
	v_cndmask_b32_e64 v37, v127, v37, s[60:61]                 // 000000005A58: D1000025 00F24B7F
	v_cndmask_b32_e64 v38, v127, v38, s[60:61]                 // 000000005A60: D1000026 00F24D7F
	v_cndmask_b32_e64 v39, v127, v39, s[60:61]                 // 000000005A68: D1000027 00F24F7F
	s_branch label_06B5                                        // 000000005A70: BF820013

0000000000005a74 <label_06A2>:
	s_mov_b32 s60, 64                                          // 000000005A74: BEBC00C0
	v_and_b32_e32 v32, 15, v0                                  // 000000005A78: 2640008F
	v_add_u32_e64 v32, v32, s60                                // 000000005A7C: D1340020 00007920
	v_mul_i32_i24_e64 v33, s46, 16                             // 000000005A84: D1060021 0001202E
	v_add_u32_e32 v32, v32, v33                                // 000000005A8C: 68404320
	v_cmp_lt_u32_e64 s[60:61], v32, s98                        // 000000005A90: D0C9003C 0000C520
	s_nop 1                                                    // 000000005A98: BF800001
	v_cndmask_b32_e64 v40, v127, v40, s[60:61]                 // 000000005A9C: D1000028 00F2517F
	v_cndmask_b32_e64 v41, v127, v41, s[60:61]                 // 000000005AA4: D1000029 00F2537F
	v_cndmask_b32_e64 v42, v127, v42, s[60:61]                 // 000000005AAC: D100002A 00F2557F
	v_cndmask_b32_e64 v43, v127, v43, s[60:61]                 // 000000005AB4: D100002B 00F2577F
	s_branch label_06CE                                        // 000000005ABC: BF820019

0000000000005ac0 <label_06B5>:
	v_mov_b32_e32 v40, v127                                    // 000000005AC0: 7E50037F
	v_mov_b32_e32 v41, v127                                    // 000000005AC4: 7E52037F
	v_mov_b32_e32 v42, v127                                    // 000000005AC8: 7E54037F
	v_mov_b32_e32 v43, v127                                    // 000000005ACC: 7E56037F
	s_branch label_06CE                                        // 000000005AD0: BF820014

0000000000005ad4 <label_06BA>:
	s_mov_b32 s60, 0x80                                        // 000000005AD4: BEBC00FF 00000080
	v_and_b32_e32 v32, 15, v0                                  // 000000005ADC: 2640008F
	v_add_u32_e64 v32, v32, s60                                // 000000005AE0: D1340020 00007920
	v_mul_i32_i24_e64 v33, s46, 16                             // 000000005AE8: D1060021 0001202E
	v_add_u32_e32 v32, v32, v33                                // 000000005AF0: 68404320
	v_cmp_lt_u32_e64 s[60:61], v32, s98                        // 000000005AF4: D0C9003C 0000C520
	s_nop 1                                                    // 000000005AFC: BF800001
	v_cndmask_b32_e64 v44, v127, v44, s[60:61]                 // 000000005B00: D100002C 00F2597F
	v_cndmask_b32_e64 v45, v127, v45, s[60:61]                 // 000000005B08: D100002D 00F25B7F
	v_cndmask_b32_e64 v46, v127, v46, s[60:61]                 // 000000005B10: D100002E 00F25D7F
	v_cndmask_b32_e64 v47, v127, v47, s[60:61]                 // 000000005B18: D100002F 00F25F7F
	s_branch label_06D3                                        // 000000005B20: BF820005

0000000000005b24 <label_06CE>:
	v_mov_b32_e32 v44, v127                                    // 000000005B24: 7E58037F
	v_mov_b32_e32 v45, v127                                    // 000000005B28: 7E5A037F
	v_mov_b32_e32 v46, v127                                    // 000000005B2C: 7E5C037F
	v_mov_b32_e32 v47, v127                                    // 000000005B30: 7E5E037F
	s_branch label_06D3                                        // 000000005B34: BF820000

0000000000005b38 <label_06D3>:
	s_waitcnt lgkmcnt(8)                                       // 000000005B38: BF8CC87F
	v_mfma_f32_16x16x32_bf16 v[60:63], v[72:75], a[64:67], 0   // 000000005B3C: D3B5003C 12028148
	v_exp_f32_e32 v36, v36                                     // 000000005B44: 7E484124
	v_exp_f32_e32 v37, v37                                     // 000000005B48: 7E4A4125
	v_mfma_f32_16x16x32_bf16 v[60:63], v[76:79], a[68:71], v[60:63]// 000000005B4C: D3B5003C 14F2894C
	v_exp_f32_e32 v38, v38                                     // 000000005B54: 7E4C4126
	v_exp_f32_e32 v39, v39                                     // 000000005B58: 7E4E4127
	v_mfma_f32_16x16x32_bf16 v[60:63], v[80:83], a[72:75], v[60:63]// 000000005B5C: D3B5003C 14F29150
	ds_read_b64_tr_b16 v[224:225], v13                         // 000000005B64: D9C60000 E000000D
	ds_read_b64_tr_b16 v[226:227], v13 offset:256              // 000000005B6C: D9C60100 E200000D
	ds_read_b64_tr_b16 v[228:229], v13 offset:1024             // 000000005B74: D9C60400 E400000D
	ds_read_b64_tr_b16 v[230:231], v13 offset:1280             // 000000005B7C: D9C60500 E600000D
	v_mfma_f32_16x16x32_bf16 v[60:63], v[84:87], a[76:79], v[60:63]// 000000005B84: D3B5003C 14F29954
	v_fma_f32 v44, v44, s57, -v104                             // 000000005B8C: D1CB002C 85A0732C
	v_fma_f32 v45, v45, s57, -v105                             // 000000005B94: D1CB002D 85A4732D
	v_exp_f32_e32 v40, v40                                     // 000000005B9C: 7E504128
	v_exp_f32_e32 v41, v41                                     // 000000005BA0: 7E524129
	buffer_atomic_pk_add_bf16 v108, v7, s[32:35], 0 offen      // 000000005BA4: E1481000 80086C07
	v_mfma_f32_16x16x32_bf16 v[64:67], v[72:75], a[80:83], 0   // 000000005BAC: D3B50040 1202A148
	ds_read_b64_tr_b16 v[232:233], v13 offset:2048             // 000000005BB4: D9C60800 E800000D
	ds_read_b64_tr_b16 v[234:235], v13 offset:2304             // 000000005BBC: D9C60900 EA00000D
	ds_read_b64_tr_b16 v[236:237], v13 offset:3072             // 000000005BC4: D9C60C00 EC00000D
	ds_read_b64_tr_b16 v[238:239], v13 offset:3328             // 000000005BCC: D9C60D00 EE00000D
	v_mfma_f32_16x16x32_bf16 v[64:67], v[76:79], a[84:87], v[64:67]// 000000005BD4: D3B50040 1502A94C
	v_fma_f32 v46, v46, s57, -v106                             // 000000005BDC: D1CB002E 85A8732E
	v_fma_f32 v47, v47, s57, -v107                             // 000000005BE4: D1CB002F 85AC732F
	v_exp_f32_e32 v42, v42                                     // 000000005BEC: 7E54412A
	v_exp_f32_e32 v43, v43                                     // 000000005BF0: 7E56412B
	v_mfma_f32_16x16x32_bf16 v[64:67], v[80:83], a[88:91], v[64:67]// 000000005BF4: D3B50040 1502B150
	v_exp_f32_e32 v44, v44                                     // 000000005BFC: 7E58412C
	v_exp_f32_e32 v45, v45                                     // 000000005C00: 7E5A412D
	v_mfma_f32_16x16x32_bf16 v[64:67], v[84:87], a[92:95], v[64:67]// 000000005C04: D3B50040 1502B954
	v_cvt_pk_bf16_f32 v120, v36, v37                           // 000000005C0C: D2680078 00024B24
	v_cvt_pk_bf16_f32 v121, v38, v39                           // 000000005C14: D2680079 00024F26
	v_cvt_pk_bf16_f32 v122, v40, v41                           // 000000005C1C: D268007A 00025328
	v_cvt_pk_bf16_f32 v123, v42, v43                           // 000000005C24: D268007B 0002572A
	v_mfma_f32_16x16x32_bf16 v[68:71], v[72:75], a[96:99], 0   // 000000005C2C: D3B50044 1202C148
	v_exp_f32_e32 v46, v46                                     // 000000005C34: 7E5C412E
	v_exp_f32_e32 v47, v47                                     // 000000005C38: 7E5E412F
	v_mfma_f32_16x16x32_bf16 v[68:71], v[76:79], a[100:103], v[68:71]// 000000005C3C: D3B50044 1512C94C
	v_permlane16_swap_b32_e32 v120, v122                       // 000000005C44: 7EF0B37A
	v_permlane16_swap_b32_e32 v121, v123                       // 000000005C48: 7EF2B37B
	v_mfma_f32_16x16x32_bf16 v[68:71], v[80:83], a[104:107], v[68:71]// 000000005C4C: D3B50044 1512D150
	ds_read_b64_tr_b16 v[240:241], v13 offset:4096             // 000000005C54: D9C61000 F000000D
	ds_read_b64_tr_b16 v[242:243], v13 offset:4352             // 000000005C5C: D9C61100 F200000D
	ds_read_b64_tr_b16 v[244:245], v13 offset:5120             // 000000005C64: D9C61400 F400000D
	ds_read_b64_tr_b16 v[246:247], v13 offset:5376             // 000000005C6C: D9C61500 F600000D
	v_mfma_f32_16x16x32_bf16 v[68:71], v[84:87], a[108:111], v[68:71]// 000000005C74: D3B50044 1512D954
	v_cvt_pk_bf16_f32 v124, v44, v45                           // 000000005C7C: D268007C 00025B2C
	v_cvt_pk_bf16_f32 v125, v46, v47                           // 000000005C84: D268007D 00025F2E
	buffer_atomic_pk_add_bf16 v109, v7, s[32:35], 0 offen offset:768// 000000005C8C: E1481300 80086D07
	s_waitcnt lgkmcnt(12)                                      // 000000005C94: BF8CCC7F
	v_mfma_f32_32x32x16_bf16 v[128:143], v[88:91], v[120:123], v[128:143]// 000000005C98: D3B70080 0602F158
	ds_read_b64_tr_b16 a[0:1], v19                             // 000000005CA0: DBC60000 00000013
	ds_read_b64_tr_b16 a[2:3], v19 offset:256                  // 000000005CA8: DBC60100 02000013
	ds_read_b64_tr_b16 a[4:5], v19 offset:12288                // 000000005CB0: DBC63000 04000013
	ds_read_b64_tr_b16 a[6:7], v19 offset:12544                // 000000005CB8: DBC63100 06000013
	ds_read_b64_tr_b16 a[8:9], v19 offset:24576                // 000000005CC0: DBC66000 08000013
	buffer_atomic_pk_add_bf16 v110, v8, s[32:35], 0 offen      // 000000005CC8: E1481000 80086E08
	v_mfma_f32_32x32x16_bf16 v[144:159], v[92:95], v[120:123], v[144:159]// 000000005CD0: D3B70090 0642F15C
	v_subrev_f32_dpp v60, v126, v60 quad_perm:[0,0,0,0] row_mask:0xf bank_mask:0xf// 000000005CD8: 067878FA FF00007E
	v_subrev_f32_dpp v61, v126, v61 quad_perm:[1,1,1,1] row_mask:0xf bank_mask:0xf// 000000005CE0: 067A7AFA FF00557E
	v_subrev_f32_dpp v62, v126, v62 quad_perm:[2,2,2,2] row_mask:0xf bank_mask:0xf// 000000005CE8: 067C7CFA FF00AA7E
	v_subrev_f32_dpp v63, v126, v63 quad_perm:[3,3,3,3] row_mask:0xf bank_mask:0xf// 000000005CF0: 067E7EFA FF00FF7E
	v_subrev_f32_dpp v64, v126, v64 quad_perm:[0,0,0,0] row_mask:0xf bank_mask:0xf// 000000005CF8: 068080FA FF00007E
	v_subrev_f32_dpp v65, v126, v65 quad_perm:[1,1,1,1] row_mask:0xf bank_mask:0xf// 000000005D00: 068282FA FF00557E
	v_subrev_f32_dpp v66, v126, v66 quad_perm:[2,2,2,2] row_mask:0xf bank_mask:0xf// 000000005D08: 068484FA FF00AA7E
	v_subrev_f32_dpp v67, v126, v67 quad_perm:[3,3,3,3] row_mask:0xf bank_mask:0xf// 000000005D10: 068686FA FF00FF7E
	v_mul_f32_e32 v60, v36, v60                                // 000000005D18: 0A787924
	v_mul_f32_e32 v61, v37, v61                                // 000000005D1C: 0A7A7B25
	v_mul_f32_e32 v62, v38, v62                                // 000000005D20: 0A7C7D26
	v_mul_f32_e32 v63, v39, v63                                // 000000005D24: 0A7E7F27
	v_mfma_f32_32x32x16_bf16 v[160:175], v[96:99], v[120:123], v[160:175]// 000000005D28: D3B700A0 0682F160
	ds_read_b64_tr_b16 a[10:11], v19 offset:24832              // 000000005D30: DBC66100 0A000013
	ds_read_b64_tr_b16 a[12:13], v19 offset:36864              // 000000005D38: DBC69000 0C000013
	ds_read_b64_tr_b16 a[14:15], v19 offset:37120              // 000000005D40: DBC69100 0E000013
	ds_read_b64_tr_b16 a[16:17], v19 offset:49152              // 000000005D48: DBC6C000 10000013
	ds_read_b64_tr_b16 a[18:19], v19 offset:49408              // 000000005D50: DBC6C100 12000013
	ds_read_b32 v104, v16 offset:38144                         // 000000005D58: D86C9500 68000010
	v_mfma_f32_32x32x16_bf16 v[176:191], v[100:103], v[120:123], v[176:191]// 000000005D60: D3B700B0 06C2F164
	v_mul_f32_e32 v64, v40, v64                                // 000000005D68: 0A808128
	v_mul_f32_e32 v65, v41, v65                                // 000000005D6C: 0A828329
	v_mul_f32_e32 v66, v42, v66                                // 000000005D70: 0A84852A
	v_mul_f32_e32 v67, v43, v67                                // 000000005D74: 0A86872B
	v_permlane16_swap_b32_e32 v88, v90                         // 000000005D78: 7EB0B35A
	v_permlane16_swap_b32_e32 v89, v91                         // 000000005D7C: 7EB2B35B
	v_cvt_pk_bf16_f32 v60, v60, v61                            // 000000005D80: D268003C 00027B3C
	v_cvt_pk_bf16_f32 v61, v62, v63                            // 000000005D88: D268003D 00027F3E
	v_cvt_pk_bf16_f32 v62, v64, v65                            // 000000005D90: D268003E 00028340
	v_cvt_pk_bf16_f32 v63, v66, v67                            // 000000005D98: D268003F 00028742
	v_permlane16_swap_b32_e32 v92, v94                         // 000000005DA0: 7EB8B35E
	v_permlane16_swap_b32_e32 v93, v95                         // 000000005DA4: 7EBAB35F
	v_mfma_f32_16x16x16_bf16 v[192:195], v[88:89], v[124:125], v[192:195]// 000000005DA8: D3E100C0 0702F958
	buffer_atomic_pk_add_bf16 v111, v8, s[32:35], 0 offen offset:768// 000000005DB0: E1481300 80086F08
	ds_write_b64 v15, v[60:61] offset:30720                    // 000000005DB8: D89A7800 00003C0F
	ds_write_b64 v15, v[62:63] offset:33024                    // 000000005DC0: D89A8100 00003E0F
	v_mfma_f32_16x16x16_bf16 v[196:199], v[90:91], v[124:125], v[196:199]// 000000005DC8: D3E100C4 0712F95A
	v_permlane16_swap_b32_e32 v96, v98                         // 000000005DD0: 7EC0B362
	v_permlane16_swap_b32_e32 v97, v99                         // 000000005DD4: 7EC2B363
	v_subrev_f32_dpp v68, v126, v68 quad_perm:[0,0,0,0] row_mask:0xf bank_mask:0xf// 000000005DD8: 068888FA FF00007E
	v_subrev_f32_dpp v69, v126, v69 quad_perm:[1,1,1,1] row_mask:0xf bank_mask:0xf// 000000005DE0: 068A8AFA FF00557E
	v_mfma_f32_16x16x16_bf16 v[200:203], v[92:93], v[124:125], v[200:203]// 000000005DE8: D3E100C8 0722F95C
	v_permlane16_swap_b32_e32 v100, v102                       // 000000005DF0: 7EC8B366
	v_permlane16_swap_b32_e32 v101, v103                       // 000000005DF4: 7ECAB367
	v_subrev_f32_dpp v70, v126, v70 quad_perm:[2,2,2,2] row_mask:0xf bank_mask:0xf// 000000005DF8: 068C8CFA FF00AA7E
	v_subrev_f32_dpp v71, v126, v71 quad_perm:[3,3,3,3] row_mask:0xf bank_mask:0xf// 000000005E00: 068E8EFA FF00FF7E
	v_mfma_f32_16x16x16_bf16 v[204:207], v[94:95], v[124:125], v[204:207]// 000000005E08: D3E100CC 0732F95E
	v_permlane16_swap_b32_e32 v60, v62                         // 000000005E10: 7E78B33E
	v_permlane16_swap_b32_e32 v61, v63                         // 000000005E14: 7E7AB33F
	v_mfma_f32_16x16x16_bf16 v[208:211], v[96:97], v[124:125], v[208:211]// 000000005E18: D3E100D0 0742F960
	ds_read_b64_tr_b16 a[20:21], v19 offset:61440              // 000000005E20: DBC6F000 14000013
	ds_read_b64_tr_b16 a[22:23], v19 offset:61696              // 000000005E28: DBC6F100 16000013
	ds_read_b64_tr_b16 a[24:25], v20                           // 000000005E30: DBC60000 18000014
	v_mfma_f32_16x16x16_bf16 v[212:215], v[98:99], v[124:125], v[212:215]// 000000005E38: D3E100D4 0752F962
	v_mul_f32_e32 v68, v44, v68                                // 000000005E40: 0A88892C
	v_mul_f32_e32 v69, v45, v69                                // 000000005E44: 0A8A8B2D
	v_mul_f32_e32 v70, v46, v70                                // 000000005E48: 0A8C8D2E
	v_mfma_f32_16x16x16_bf16 v[216:219], v[100:101], v[124:125], v[216:219]// 000000005E4C: D3E100D8 0762F964
	ds_read_b32 v126, v16 offset:38400                         // 000000005E54: D86C9600 7E000010
	ds_read_b64_tr_b16 a[26:27], v20 offset:256                // 000000005E5C: DBC60100 1A000014
	ds_read_b64_tr_b16 a[28:29], v20 offset:12288              // 000000005E64: DBC63000 1C000014
	v_mfma_f32_16x16x16_bf16 v[220:223], v[102:103], v[124:125], v[220:223]// 000000005E6C: D3E100DC 0772F966
	v_mul_f32_e32 v71, v47, v71                                // 000000005E74: 0A8E8F2F
	v_cvt_pk_bf16_f32 v64, v68, v69                            // 000000005E78: D2680040 00028B44
	v_cvt_pk_bf16_f32 v65, v70, v71                            // 000000005E80: D2680041 00028F46
	s_waitcnt lgkmcnt(8)                                       // 000000005E88: BF8CC87F
	v_mfma_f32_32x32x16_bf16 a[112:127], v[224:227], v[60:63], a[112:127]// 000000005E8C: D3B78070 05C279E0
	ds_read_b64_tr_b16 a[30:31], v20 offset:12544              // 000000005E94: DBC63100 1E000014
	ds_write_b64 v15, v[64:65] offset:35328                    // 000000005E9C: D89A8A00 0000400F
	ds_read_b64_tr_b16 a[32:33], v20 offset:24576              // 000000005EA4: DBC66000 20000014
	ds_read_b64_tr_b16 a[34:35], v20 offset:24832              // 000000005EAC: DBC66100 22000014
	v_mfma_f32_32x32x16_bf16 a[128:143], v[228:231], v[60:63], a[128:143]// 000000005EB4: D3B78080 060279E4
	v_mul_f32_e32 v104, s48, v104                              // 000000005EBC: 0AD0D030
	buffer_atomic_pk_add_bf16 v112, v9, s[32:35], 0 offen      // 000000005EC0: E1481000 80087009
	v_mfma_f32_32x32x16_bf16 a[144:159], v[232:235], v[60:63], a[144:159]// 000000005EC8: D3B78090 064279E8
	ds_read_b64_tr_b16 a[36:37], v20 offset:36864              // 000000005ED0: DBC69000 24000014
	ds_read_b64_tr_b16 a[38:39], v20 offset:37120              // 000000005ED8: DBC69100 26000014
	ds_read_b64_tr_b16 a[40:41], v20 offset:49152              // 000000005EE0: DBC6C000 28000014
	ds_read_b64_tr_b16 a[42:43], v20 offset:49408              // 000000005EE8: DBC6C100 2A000014
	ds_read_b64_tr_b16 a[44:45], v20 offset:61440              // 000000005EF0: DBC6F000 2C000014
	ds_read_b64_tr_b16 a[46:47], v20 offset:61696              // 000000005EF8: DBC6F100 2E000014
	v_mfma_f32_32x32x16_bf16 a[160:175], v[236:239], v[60:63], a[160:175]// 000000005F00: D3B780A0 068279EC
	.long 0x7fc0b3e2                                           // 000000005F08: 7FC0B3E2
	.long 0x7fc2b3e3                                           // 000000005F0C: 7FC2B3E3
	s_waitcnt lgkmcnt(8)                                       // 000000005F10: BF8CC87F
	s_barrier                                                  // 000000005F14: BF8A0000
	v_mfma_f32_32x32x16_bf16 a[176:191], v[240:243], v[60:63], a[176:191]// 000000005F18: D3B780B0 06C279F0
	ds_read_b64_tr_b16 v[36:37], v14 offset:30720              // 000000005F20: D9C67800 2400000E
	ds_read_b64_tr_b16 v[38:39], v14 offset:30752              // 000000005F28: D9C67820 2600000E
	ds_read_b64_tr_b16 v[40:41], v14 offset:31872              // 000000005F30: D9C67C80 2800000E
	ds_read_b64_tr_b16 v[42:43], v14 offset:31904              // 000000005F38: D9C67CA0 2A00000E
	ds_read_b64_tr_b16 v[44:45], v14 offset:33024              // 000000005F40: D9C68100 2C00000E
	ds_read_b64_tr_b16 v[46:47], v14 offset:33056              // 000000005F48: D9C68120 2E00000E
	v_mfma_f32_32x32x16_bf16 a[192:207], v[244:247], v[60:63], a[192:207]// 000000005F50: D3B780C0 070279F4
	.long 0x7fc8b3e6                                           // 000000005F58: 7FC8B3E6
	.long 0x7fcab3e7                                           // 000000005F5C: 7FCAB3E7
	v_mov_b32_dpp v107, v104 quad_perm:[3,3,3,3] row_mask:0xf bank_mask:0xf// 000000005F60: 7ED602FA FF00FF68
	v_mov_b32_dpp v106, v104 quad_perm:[2,2,2,2] row_mask:0xf bank_mask:0xf// 000000005F68: 7ED402FA FF00AA68
	v_mfma_f32_16x16x16_bf16 a[208:211], v[224:225], v[64:65], a[208:211]// 000000005F70: D3E180D0 074281E0
	ds_read_b64_tr_b16 v[48:49], v14 offset:34176              // 000000005F78: D9C68580 3000000E
	ds_read_b64_tr_b16 v[50:51], v14 offset:34208              // 000000005F80: D9C685A0 3200000E
	ds_read_b64_tr_b16 v[52:53], v14 offset:35328              // 000000005F88: D9C68A00 3400000E
	v_mfma_f32_16x16x16_bf16 a[212:215], v[226:227], v[64:65], a[212:215]// 000000005F90: D3E180D4 075281E2
	.long 0x7fd0b3ea                                           // 000000005F98: 7FD0B3EA
	.long 0x7fd2b3eb                                           // 000000005F9C: 7FD2B3EB
	v_mfma_f32_16x16x16_bf16 a[216:219], v[228:229], v[64:65], a[216:219]// 000000005FA0: D3E180D8 076281E4
	ds_read_b64_tr_b16 v[54:55], v14 offset:35360              // 000000005FA8: D9C68A20 3600000E
	ds_read_b64_tr_b16 v[56:57], v14 offset:36480              // 000000005FB0: D9C68E80 3800000E
	ds_read_b64_tr_b16 v[58:59], v14 offset:36512              // 000000005FB8: D9C68EA0 3A00000E
	v_mfma_f32_16x16x16_bf16 a[220:223], v[230:231], v[64:65], a[220:223]// 000000005FC0: D3E180DC 077281E6
	v_permlane16_swap_b32_e32 v236, v238                       // 000000005FC8: 7FD8B3EE
	v_permlane16_swap_b32_e32 v237, v239                       // 000000005FCC: 7FDAB3EF
	v_mfma_f32_16x16x16_bf16 a[224:227], v[232:233], v[64:65], a[224:227]// 000000005FD0: D3E180E0 078281E8
	ds_read_b64_tr_b16 a[48:49], v21                           // 000000005FD8: DBC60000 30000015
	ds_read_b64_tr_b16 a[50:51], v21 offset:256                // 000000005FE0: DBC60100 32000015
	ds_read_b64_tr_b16 a[52:53], v21 offset:12288              // 000000005FE8: DBC63000 34000015
	v_mfma_f32_16x16x16_bf16 a[228:231], v[234:235], v[64:65], a[228:231]// 000000005FF0: D3E180E4 079281EA
	v_permlane16_swap_b32_e32 v240, v242                       // 000000005FF8: 7FE0B3F2
	v_permlane16_swap_b32_e32 v241, v243                       // 000000005FFC: 7FE2B3F3
	v_mfma_f32_16x16x16_bf16 a[232:235], v[236:237], v[64:65], a[232:235]// 000000006000: D3E180E8 07A281EC
	ds_read_b64_tr_b16 a[54:55], v21 offset:12544              // 000000006008: DBC63100 36000015
	ds_read_b64_tr_b16 a[56:57], v21 offset:24576              // 000000006010: DBC66000 38000015
	ds_read_b64_tr_b16 a[58:59], v21 offset:24832              // 000000006018: DBC66100 3A000015
	v_mfma_f32_16x16x16_bf16 a[236:239], v[238:239], v[64:65], a[236:239]// 000000006020: D3E180EC 07B281EE
	v_permlane16_swap_b32_e32 v244, v246                       // 000000006028: 7FE8B3F6
	v_permlane16_swap_b32_e32 v245, v247                       // 00000000602C: 7FEAB3F7
	v_mfma_f32_16x16x16_bf16 a[240:243], v[240:241], v[64:65], a[240:243]// 000000006030: D3E180F0 07C281F0
	ds_read_b64_tr_b16 a[60:61], v21 offset:36864              // 000000006038: DBC69000 3C000015
	ds_read_b64_tr_b16 a[62:63], v21 offset:37120              // 000000006040: DBC69100 3E000015
	ds_read_b64_tr_b16 v[248:249], v21 offset:49152            // 000000006048: D9C6C000 F8000015
	v_mfma_f32_16x16x16_bf16 a[244:247], v[242:243], v[64:65], a[244:247]// 000000006050: D3E180F4 07D281F2
	v_mov_b32_dpp v105, v104 quad_perm:[1,1,1,1] row_mask:0xf bank_mask:0xf// 000000006058: 7ED202FA FF005568
	buffer_atomic_pk_add_bf16 v113, v9, s[32:35], 0 offen offset:768// 000000006060: E1481300 80087109
	v_mfma_f32_16x16x16_bf16 a[248:251], v[244:245], v[64:65], a[248:251]// 000000006068: D3E180F8 07E281F4
	ds_read_b64_tr_b16 v[250:251], v21 offset:49408            // 000000006070: D9C6C100 FA000015
	ds_read_b64_tr_b16 v[252:253], v21 offset:61440            // 000000006078: D9C6F000 FC000015
	ds_read_b64_tr_b16 v[254:255], v21 offset:61696            // 000000006080: D9C6F100 FE000015
	v_mfma_f32_16x16x16_bf16 a[252:255], v[246:247], v[64:65], a[252:255]// 000000006088: D3E180FC 07F281F6
	v_mov_b32_dpp v104, v104 quad_perm:[0,0,0,0] row_mask:0xf bank_mask:0xf// 000000006090: 7ED002FA FF000068
	s_waitcnt vmcnt(6) lgkmcnt(6)                              // 000000006098: BF8C0676
	s_barrier                                                  // 00000000609C: BF8A0000
	v_mfma_f32_16x16x32_bf16 v[108:111], a[0:3], v[36:39], 0   // 0000000060A0: D3B5006C 0A024900
	ds_read_b128 v[224:227], v12 offset:6144                   // 0000000060A8: D9FE1800 E000000C
	ds_read_b128 v[228:231], v12 offset:7168                   // 0000000060B0: D9FE1C00 E400000C
	v_mfma_f32_16x16x32_bf16 v[108:111], a[4:7], v[40:43], v[108:111]// 0000000060B8: D3B5006C 0DB25104
	s_mov_b32 m0, s77                                          // 0000000060C0: BEFC004D
	buffer_load_dwordx4 v1, s[8:11], 0 idxen lds               // 0000000060C4: E05D2000 80020001
	v_mfma_f32_16x16x32_bf16 v[108:111], a[8:11], v[44:47], v[108:111]// 0000000060CC: D3B5006C 0DB25908
	ds_read_b128 v[232:235], v12 offset:8192                   // 0000000060D4: D9FE2000 E800000C
	ds_read_b128 v[236:239], v12 offset:9216                   // 0000000060DC: D9FE2400 EC00000C
	v_mfma_f32_16x16x32_bf16 v[108:111], a[12:15], v[48:51], v[108:111]// 0000000060E4: D3B5006C 0DB2610C
	s_mov_b32 m0, s78                                          // 0000000060EC: BEFC004E
	buffer_load_dword v2, s[8:11], 0 idxen lds                 // 0000000060F0: E0512000 80020002
	v_mfma_f32_16x16x32_bf16 v[108:111], a[16:19], v[52:55], v[108:111]// 0000000060F8: D3B5006C 0DB26910
	ds_read_b128 v[240:243], v12 offset:10240                  // 000000006100: D9FE2800 F000000C
	ds_read_b128 v[244:247], v12 offset:11264                  // 000000006108: D9FE2C00 F400000C
	v_mfma_f32_16x16x32_bf16 v[108:111], a[20:23], v[56:59], v[108:111]// 000000006110: D3B5006C 0DB27114
	s_mov_b32 m0, s79                                          // 000000006118: BEFC004F
	buffer_load_dword v3, s[8:11], 0 idxen lds                 // 00000000611C: E0512000 80020003
	v_mfma_f32_16x16x32_bf16 v[112:115], a[24:27], v[36:39], 0 // 000000006124: D3B50070 0A024918
	ds_read_b128 a[0:3], v17                                   // 00000000612C: DBFE0000 00000011
	ds_read_b128 a[4:7], v17 offset:1024                       // 000000006134: DBFE0400 04000011
	v_mfma_f32_16x16x32_bf16 v[112:115], a[28:31], v[40:43], v[112:115]// 00000000613C: D3B50070 0DC2511C
	s_mov_b32 m0, s86                                          // 000000006144: BEFC0056
	buffer_load_dwordx4 v4, s[20:23], 0 idxen lds              // 000000006148: E05D2000 80050004
	v_mfma_f32_16x16x32_bf16 v[112:115], a[32:35], v[44:47], v[112:115]// 000000006150: D3B50070 0DC25920
	ds_read_b128 a[8:11], v17 offset:2048                      // 000000006158: DBFE0800 08000011
	ds_read_b128 a[12:15], v17 offset:3072                     // 000000006160: DBFE0C00 0C000011
	v_mfma_f32_16x16x32_bf16 v[112:115], a[36:39], v[48:51], v[112:115]// 000000006168: D3B50070 0DC26124
	v_mul_f32_e32 v108, s47, v108                              // 000000006170: 0AD8D82F
	v_mul_f32_e32 v109, s47, v109                              // 000000006174: 0ADADA2F
	s_mov_b32 m0, s74                                          // 000000006178: BEFC004A
	buffer_load_dword v11, s[24:27], 0 idxen lds               // 00000000617C: E0512000 8006000B
	v_mfma_f32_16x16x32_bf16 v[112:115], a[40:43], v[52:55], v[112:115]// 000000006184: D3B50070 0DC26928
	ds_read_b128 a[16:19], v17 offset:4096                     // 00000000618C: DBFE1000 10000011
	ds_read_b128 a[20:23], v17 offset:5120                     // 000000006194: DBFE1400 14000011
	v_mfma_f32_16x16x32_bf16 v[112:115], a[44:47], v[56:59], v[112:115]// 00000000619C: D3B50070 0DC2712C
	s_add_u32 s60, 64, s59                                     // 0000000061A4: 803C3BC0
	s_cmp_lt_u32 s60, s58                                      // 0000000061A8: BF0A3A3C
	s_cselect_b32 s68, s68, 0                                  // 0000000061AC: 85448044
	s_cselect_b32 s97, s97, 0                                  // 0000000061B0: 85618061
	s_cselect_b32 s69, s69, 0                                  // 0000000061B4: 85458045
	v_mfma_f32_16x16x32_bf16 v[116:119], a[48:51], v[36:39], 0 // 0000000061B8: D3B50074 0A024930
	ds_read_b128 a[24:27], v17 offset:24576                    // 0000000061C0: DBFE6000 18000011
	ds_read_b128 a[28:31], v17 offset:25600                    // 0000000061C8: DBFE6400 1C000011
	v_mfma_f32_16x16x32_bf16 v[116:119], a[52:55], v[40:43], v[116:119]// 0000000061D0: D3B50074 0DD25134
	v_add_u32_e32 v1, s68, v1                                  // 0000000061D8: 68020244
	v_add_u32_e32 v2, s68, v2                                  // 0000000061DC: 68040444
	v_add_u32_e32 v3, s68, v3                                  // 0000000061E0: 68060644
	v_add_u32_e32 v4, s97, v4                                  // 0000000061E4: 68080861
	v_add_u32_e32 v11, s69, v11                                // 0000000061E8: 68161645
	s_waitcnt lgkmcnt(14)                                      // 0000000061EC: BF8CCE7F
	v_mfma_f32_16x16x32_bf16 v[116:119], a[56:59], v[44:47], v[116:119]// 0000000061F0: D3B50074 0DD25938
	ds_read_b128 a[32:35], v17 offset:26624                    // 0000000061F8: DBFE6800 20000011
	ds_read_b128 a[36:39], v17 offset:27648                    // 000000006200: DBFE6C00 24000011
	v_mfma_f32_16x16x32_bf16 v[116:119], a[60:63], v[48:51], v[116:119]// 000000006208: D3B50074 0DD2613C
	v_mul_f32_e32 v110, s47, v110                              // 000000006210: 0ADCDC2F
	v_mul_f32_e32 v111, s47, v111                              // 000000006214: 0ADEDE2F
	s_cmp_ge_u32 s59, 16                                       // 000000006218: BF09903B
	s_cselect_b32 s66, s67, s66                                // 00000000621C: 85424243
	v_mfma_f32_16x16x32_bf16 v[116:119], v[248:251], v[52:55], v[116:119]// 000000006220: D3B50074 05D269F8
	ds_read_b128 a[40:43], v17 offset:28672                    // 000000006228: DBFE7000 28000011
	ds_read_b128 a[44:47], v17 offset:29696                    // 000000006230: DBFE7400 2C000011
	v_mfma_f32_16x16x32_bf16 v[116:119], v[252:255], v[56:59], v[116:119]// 000000006238: D3B50074 05D271FC
	s_addk_i32 s59, 0x10                                       // 000000006240: B73B0010
	v_mul_f32_e32 v112, s47, v112                              // 000000006244: 0AE0E02F
	v_mul_f32_e32 v113, s47, v113                              // 000000006248: 0AE2E22F
	s_cmp_lt_i32 s59, s58                                      // 00000000624C: BF043A3B
	s_cbranch_scc0 label_0DB7                                  // 000000006250: BF840513
	s_waitcnt lgkmcnt(2)                                       // 000000006254: BF8CC27F
	v_mfma_f32_16x16x32_bf16 v[36:39], v[224:227], a[0:3], 0   // 000000006258: D3B50024 120201E0
	ds_read_b128 a[48:51], v17 offset:49152                    // 000000006260: DBFEC000 30000011
	ds_read_b128 a[52:55], v17 offset:50176                    // 000000006268: DBFEC400 34000011
	v_mfma_f32_16x16x32_bf16 v[36:39], v[228:231], a[4:7], v[36:39]// 000000006270: D3B50024 149209E4
	v_add_u32_e32 v7, s66, v7                                  // 000000006278: 680E0E42
	v_add_u32_e32 v8, s66, v8                                  // 00000000627C: 68101042
	v_add_u32_e32 v9, s66, v9                                  // 000000006280: 68121242
	v_mfma_f32_16x16x32_bf16 v[36:39], v[232:235], a[8:11], v[36:39]// 000000006284: D3B50024 149211E8
	ds_read_b128 a[56:59], v17 offset:51200                    // 00000000628C: DBFEC800 38000011
	ds_read_b128 a[60:63], v17 offset:52224                    // 000000006294: DBFECC00 3C000011
	v_mfma_f32_16x16x32_bf16 v[36:39], v[236:239], a[12:15], v[36:39]// 00000000629C: D3B50024 149219EC
	v_cvt_pk_bf16_f32 v108, v108, v109                         // 0000000062A4: D268006C 0002DB6C
	v_cvt_pk_bf16_f32 v109, v110, v111                         // 0000000062AC: D268006D 0002DF6E
	v_mfma_f32_16x16x32_bf16 v[36:39], v[240:243], a[16:19], v[36:39]// 0000000062B4: D3B50024 149221F0
	ds_read_b128 v[248:251], v17 offset:53248                  // 0000000062BC: D9FED000 F8000011
	ds_read_b128 v[252:255], v17 offset:54272                  // 0000000062C4: D9FED400 FC000011
	v_mfma_f32_16x16x32_bf16 v[36:39], v[244:247], a[20:23], v[36:39]// 0000000062CC: D3B50024 149229F4
	v_mul_f32_e32 v114, s47, v114                              // 0000000062D4: 0AE4E42F
	v_mul_f32_e32 v115, s47, v115                              // 0000000062D8: 0AE6E62F
	v_mfma_f32_16x16x32_bf16 v[40:43], v[224:227], a[24:27], 0 // 0000000062DC: D3B50028 120231E0
	ds_read_b128 v[72:75], v12 offset:22528                    // 0000000062E4: D9FE5800 4800000C
	ds_read_b128 v[76:79], v12 offset:23552                    // 0000000062EC: D9FE5C00 4C00000C
	v_mfma_f32_16x16x32_bf16 v[40:43], v[228:231], a[28:31], v[40:43]// 0000000062F4: D3B50028 14A239E4
	v_mul_f32_e32 v116, s47, v116                              // 0000000062FC: 0AE8E82F
	v_mul_f32_e32 v117, s47, v117                              // 000000006300: 0AEAEA2F
	v_mfma_f32_16x16x32_bf16 v[40:43], v[232:235], a[32:35], v[40:43]// 000000006304: D3B50028 14A241E8
	ds_read_b128 v[80:83], v12 offset:24576                    // 00000000630C: D9FE6000 5000000C
	ds_read_b128 v[84:87], v12 offset:25600                    // 000000006314: D9FE6400 5400000C
	v_mfma_f32_16x16x32_bf16 v[40:43], v[236:239], a[36:39], v[40:43]// 00000000631C: D3B50028 14A249EC
	v_mul_f32_e32 v118, s47, v118                              // 000000006324: 0AECEC2F
	v_mul_f32_e32 v119, s47, v119                              // 000000006328: 0AEEEE2F
	v_cvt_pk_bf16_f32 v110, v112, v113                         // 00000000632C: D268006E 0002E370
	v_cvt_pk_bf16_f32 v111, v114, v115                         // 000000006334: D268006F 0002E772
	s_waitcnt lgkmcnt(10)                                      // 00000000633C: BF8CCA7F
	v_mfma_f32_16x16x32_bf16 v[40:43], v[240:243], a[40:43], v[40:43]// 000000006340: D3B50028 14A251F0
	ds_read_b64_tr_b16 v[88:89], v13 offset:22528              // 000000006348: D9C65800 5800000D
	ds_read_b64_tr_b16 v[90:91], v13 offset:22784              // 000000006350: D9C65900 5A00000D
	v_mfma_f32_16x16x32_bf16 v[40:43], v[244:247], a[44:47], v[40:43]// 000000006358: D3B50028 14A259F4
	v_fma_f32 v36, v36, s57, -v104                             // 000000006360: D1CB0024 85A07324
	v_fma_f32 v37, v37, s57, -v105                             // 000000006368: D1CB0025 85A47325
	s_waitcnt lgkmcnt(10)                                      // 000000006370: BF8CCA7F
	v_mfma_f32_16x16x32_bf16 v[44:47], v[224:227], a[48:51], 0 // 000000006374: D3B5002C 120261E0
	ds_read_b64_tr_b16 v[92:93], v13 offset:23552              // 00000000637C: D9C65C00 5C00000D
	ds_read_b64_tr_b16 v[94:95], v13 offset:23808              // 000000006384: D9C65D00 5E00000D
	v_mfma_f32_16x16x32_bf16 v[44:47], v[228:231], a[52:55], v[44:47]// 00000000638C: D3B5002C 14B269E4
	v_fma_f32 v38, v38, s57, -v106                             // 000000006394: D1CB0026 85A87326
	v_fma_f32 v39, v39, s57, -v107                             // 00000000639C: D1CB0027 85AC7327
	s_waitcnt lgkmcnt(10)                                      // 0000000063A4: BF8CCA7F
	v_mfma_f32_16x16x32_bf16 v[44:47], v[232:235], a[56:59], v[44:47]// 0000000063A8: D3B5002C 14B271E8
	ds_read_b64_tr_b16 v[96:97], v13 offset:24576              // 0000000063B0: D9C66000 6000000D
	ds_read_b64_tr_b16 v[98:99], v13 offset:24832              // 0000000063B8: D9C66100 6200000D
	v_mfma_f32_16x16x32_bf16 v[44:47], v[236:239], a[60:63], v[44:47]// 0000000063C0: D3B5002C 14B279EC
	v_fma_f32 v40, v40, s57, -v104                             // 0000000063C8: D1CB0028 85A07328
	v_fma_f32 v41, v41, s57, -v105                             // 0000000063D0: D1CB0029 85A47329
	v_cvt_pk_bf16_f32 v112, v116, v117                         // 0000000063D8: D2680070 0002EB74
	v_cvt_pk_bf16_f32 v113, v118, v119                         // 0000000063E0: D2680071 0002EF76
	s_waitcnt lgkmcnt(10)                                      // 0000000063E8: BF8CCA7F
	v_mfma_f32_16x16x32_bf16 v[44:47], v[240:243], v[248:251], v[44:47]// 0000000063EC: D3B5002C 04B3F1F0
	ds_read_b64_tr_b16 v[100:101], v13 offset:25600            // 0000000063F4: D9C66400 6400000D
	ds_read_b64_tr_b16 v[102:103], v13 offset:25856            // 0000000063FC: D9C66500 6600000D
	v_mfma_f32_16x16x32_bf16 v[44:47], v[244:247], v[252:255], v[44:47]// 000000006404: D3B5002C 04B3F9F4
	v_fma_f32 v42, v42, s57, -v106                             // 00000000640C: D1CB002A 85A8732A
	v_fma_f32 v43, v43, s57, -v107                             // 000000006414: D1CB002B 85AC732B
	s_cmp_lt_i32 s98, 0xc0                                     // 00000000641C: BF04FF62 000000C0
	s_cbranch_scc0 label_0961                                  // 000000006424: BF84004D
	s_cmp_le_i32 s98, 64                                       // 000000006428: BF05C062
	s_cbranch_scc1 label_0918                                  // 00000000642C: BF850007
	s_cmp_le_i32 s98, 0x80                                     // 000000006430: BF05FF62 00000080
	s_cbranch_scc1 label_0930                                  // 000000006438: BF850017
	s_cmp_lt_i32 s98, 0xc0                                     // 00000000643C: BF04FF62 000000C0
	s_cbranch_scc1 label_0948                                  // 000000006444: BF85002C
	s_branch label_0961                                        // 000000006448: BF820044

000000000000644c <label_0918>:
	s_mov_b32 s60, 0                                           // 00000000644C: BEBC0080
	v_and_b32_e32 v32, 15, v0                                  // 000000006450: 2640008F
	v_add_u32_e64 v32, v32, s60                                // 000000006454: D1340020 00007920
	v_mul_i32_i24_e64 v33, s46, 16                             // 00000000645C: D1060021 0001202E
	v_add_u32_e32 v32, v32, v33                                // 000000006464: 68404320
	v_cmp_lt_u32_e64 s[60:61], v32, s98                        // 000000006468: D0C9003C 0000C520
	s_nop 1                                                    // 000000006470: BF800001
	v_cndmask_b32_e64 v36, v127, v36, s[60:61]                 // 000000006474: D1000024 00F2497F
	v_cndmask_b32_e64 v37, v127, v37, s[60:61]                 // 00000000647C: D1000025 00F24B7F
	v_cndmask_b32_e64 v38, v127, v38, s[60:61]                 // 000000006484: D1000026 00F24D7F
	v_cndmask_b32_e64 v39, v127, v39, s[60:61]                 // 00000000648C: D1000027 00F24F7F
	s_branch label_0943                                        // 000000006494: BF820013

0000000000006498 <label_0930>:
	s_mov_b32 s60, 64                                          // 000000006498: BEBC00C0
	v_and_b32_e32 v32, 15, v0                                  // 00000000649C: 2640008F
	v_add_u32_e64 v32, v32, s60                                // 0000000064A0: D1340020 00007920
	v_mul_i32_i24_e64 v33, s46, 16                             // 0000000064A8: D1060021 0001202E
	v_add_u32_e32 v32, v32, v33                                // 0000000064B0: 68404320
	v_cmp_lt_u32_e64 s[60:61], v32, s98                        // 0000000064B4: D0C9003C 0000C520
	s_nop 1                                                    // 0000000064BC: BF800001
	v_cndmask_b32_e64 v40, v127, v40, s[60:61]                 // 0000000064C0: D1000028 00F2517F
	v_cndmask_b32_e64 v41, v127, v41, s[60:61]                 // 0000000064C8: D1000029 00F2537F
	v_cndmask_b32_e64 v42, v127, v42, s[60:61]                 // 0000000064D0: D100002A 00F2557F
	v_cndmask_b32_e64 v43, v127, v43, s[60:61]                 // 0000000064D8: D100002B 00F2577F
	s_branch label_095C                                        // 0000000064E0: BF820019

00000000000064e4 <label_0943>:
	v_mov_b32_e32 v40, v127                                    // 0000000064E4: 7E50037F
	v_mov_b32_e32 v41, v127                                    // 0000000064E8: 7E52037F
	v_mov_b32_e32 v42, v127                                    // 0000000064EC: 7E54037F
	v_mov_b32_e32 v43, v127                                    // 0000000064F0: 7E56037F
	s_branch label_095C                                        // 0000000064F4: BF820014

00000000000064f8 <label_0948>:
	s_mov_b32 s60, 0x80                                        // 0000000064F8: BEBC00FF 00000080
	v_and_b32_e32 v32, 15, v0                                  // 000000006500: 2640008F
	v_add_u32_e64 v32, v32, s60                                // 000000006504: D1340020 00007920
	v_mul_i32_i24_e64 v33, s46, 16                             // 00000000650C: D1060021 0001202E
	v_add_u32_e32 v32, v32, v33                                // 000000006514: 68404320
	v_cmp_lt_u32_e64 s[60:61], v32, s98                        // 000000006518: D0C9003C 0000C520
	s_nop 1                                                    // 000000006520: BF800001
	v_cndmask_b32_e64 v44, v127, v44, s[60:61]                 // 000000006524: D100002C 00F2597F
	v_cndmask_b32_e64 v45, v127, v45, s[60:61]                 // 00000000652C: D100002D 00F25B7F
	v_cndmask_b32_e64 v46, v127, v46, s[60:61]                 // 000000006534: D100002E 00F25D7F
	v_cndmask_b32_e64 v47, v127, v47, s[60:61]                 // 00000000653C: D100002F 00F25F7F
	s_branch label_0961                                        // 000000006544: BF820005

0000000000006548 <label_095C>:
	v_mov_b32_e32 v44, v127                                    // 000000006548: 7E58037F
	v_mov_b32_e32 v45, v127                                    // 00000000654C: 7E5A037F
	v_mov_b32_e32 v46, v127                                    // 000000006550: 7E5C037F
	v_mov_b32_e32 v47, v127                                    // 000000006554: 7E5E037F
	s_branch label_0961                                        // 000000006558: BF820000

000000000000655c <label_0961>:
	s_waitcnt lgkmcnt(8)                                       // 00000000655C: BF8CC87F
	v_mfma_f32_16x16x32_bf16 v[60:63], v[72:75], a[64:67], 0   // 000000006560: D3B5003C 12028148
	v_exp_f32_e32 v36, v36                                     // 000000006568: 7E484124
	v_exp_f32_e32 v37, v37                                     // 00000000656C: 7E4A4125
	v_mfma_f32_16x16x32_bf16 v[60:63], v[76:79], a[68:71], v[60:63]// 000000006570: D3B5003C 14F2894C
	v_exp_f32_e32 v38, v38                                     // 000000006578: 7E4C4126
	v_exp_f32_e32 v39, v39                                     // 00000000657C: 7E4E4127
	v_mfma_f32_16x16x32_bf16 v[60:63], v[80:83], a[72:75], v[60:63]// 000000006580: D3B5003C 14F29150
	ds_read_b64_tr_b16 v[224:225], v13 offset:6144             // 000000006588: D9C61800 E000000D
	ds_read_b64_tr_b16 v[226:227], v13 offset:6400             // 000000006590: D9C61900 E200000D
	ds_read_b64_tr_b16 v[228:229], v13 offset:7168             // 000000006598: D9C61C00 E400000D
	ds_read_b64_tr_b16 v[230:231], v13 offset:7424             // 0000000065A0: D9C61D00 E600000D
	v_mfma_f32_16x16x32_bf16 v[60:63], v[84:87], a[76:79], v[60:63]// 0000000065A8: D3B5003C 14F29954
	v_fma_f32 v44, v44, s57, -v104                             // 0000000065B0: D1CB002C 85A0732C
	v_fma_f32 v45, v45, s57, -v105                             // 0000000065B8: D1CB002D 85A4732D
	v_exp_f32_e32 v40, v40                                     // 0000000065C0: 7E504128
	v_exp_f32_e32 v41, v41                                     // 0000000065C4: 7E524129
	buffer_atomic_pk_add_bf16 v108, v7, s[32:35], 0 offen      // 0000000065C8: E1481000 80086C07
	v_mfma_f32_16x16x32_bf16 v[64:67], v[72:75], a[80:83], 0   // 0000000065D0: D3B50040 1202A148
	ds_read_b64_tr_b16 v[232:233], v13 offset:8192             // 0000000065D8: D9C62000 E800000D
	ds_read_b64_tr_b16 v[234:235], v13 offset:8448             // 0000000065E0: D9C62100 EA00000D
	ds_read_b64_tr_b16 v[236:237], v13 offset:9216             // 0000000065E8: D9C62400 EC00000D
	ds_read_b64_tr_b16 v[238:239], v13 offset:9472             // 0000000065F0: D9C62500 EE00000D
	v_mfma_f32_16x16x32_bf16 v[64:67], v[76:79], a[84:87], v[64:67]// 0000000065F8: D3B50040 1502A94C
	v_fma_f32 v46, v46, s57, -v106                             // 000000006600: D1CB002E 85A8732E
	v_fma_f32 v47, v47, s57, -v107                             // 000000006608: D1CB002F 85AC732F
	v_exp_f32_e32 v42, v42                                     // 000000006610: 7E54412A
	v_exp_f32_e32 v43, v43                                     // 000000006614: 7E56412B
	v_mfma_f32_16x16x32_bf16 v[64:67], v[80:83], a[88:91], v[64:67]// 000000006618: D3B50040 1502B150
	v_exp_f32_e32 v44, v44                                     // 000000006620: 7E58412C
	v_exp_f32_e32 v45, v45                                     // 000000006624: 7E5A412D
	v_mfma_f32_16x16x32_bf16 v[64:67], v[84:87], a[92:95], v[64:67]// 000000006628: D3B50040 1502B954
	v_cvt_pk_bf16_f32 v120, v36, v37                           // 000000006630: D2680078 00024B24
	v_cvt_pk_bf16_f32 v121, v38, v39                           // 000000006638: D2680079 00024F26
	v_cvt_pk_bf16_f32 v122, v40, v41                           // 000000006640: D268007A 00025328
	v_cvt_pk_bf16_f32 v123, v42, v43                           // 000000006648: D268007B 0002572A
	v_mfma_f32_16x16x32_bf16 v[68:71], v[72:75], a[96:99], 0   // 000000006650: D3B50044 1202C148
	v_exp_f32_e32 v46, v46                                     // 000000006658: 7E5C412E
	v_exp_f32_e32 v47, v47                                     // 00000000665C: 7E5E412F
	v_mfma_f32_16x16x32_bf16 v[68:71], v[76:79], a[100:103], v[68:71]// 000000006660: D3B50044 1512C94C
	v_permlane16_swap_b32_e32 v120, v122                       // 000000006668: 7EF0B37A
	v_permlane16_swap_b32_e32 v121, v123                       // 00000000666C: 7EF2B37B
	v_mfma_f32_16x16x32_bf16 v[68:71], v[80:83], a[104:107], v[68:71]// 000000006670: D3B50044 1512D150
	ds_read_b64_tr_b16 v[240:241], v13 offset:10240            // 000000006678: D9C62800 F000000D
	ds_read_b64_tr_b16 v[242:243], v13 offset:10496            // 000000006680: D9C62900 F200000D
	ds_read_b64_tr_b16 v[244:245], v13 offset:11264            // 000000006688: D9C62C00 F400000D
	ds_read_b64_tr_b16 v[246:247], v13 offset:11520            // 000000006690: D9C62D00 F600000D
	v_mfma_f32_16x16x32_bf16 v[68:71], v[84:87], a[108:111], v[68:71]// 000000006698: D3B50044 1512D954
	v_cvt_pk_bf16_f32 v124, v44, v45                           // 0000000066A0: D268007C 00025B2C
	v_cvt_pk_bf16_f32 v125, v46, v47                           // 0000000066A8: D268007D 00025F2E
	buffer_atomic_pk_add_bf16 v109, v7, s[32:35], 0 offen offset:768// 0000000066B0: E1481300 80086D07
	s_waitcnt lgkmcnt(12)                                      // 0000000066B8: BF8CCC7F
	v_mfma_f32_32x32x16_bf16 v[128:143], v[88:91], v[120:123], v[128:143]// 0000000066BC: D3B70080 0602F158
	ds_read_b64_tr_b16 a[0:1], v19                             // 0000000066C4: DBC60000 00000013
	ds_read_b64_tr_b16 a[2:3], v19 offset:256                  // 0000000066CC: DBC60100 02000013
	ds_read_b64_tr_b16 a[4:5], v19 offset:12288                // 0000000066D4: DBC63000 04000013
	ds_read_b64_tr_b16 a[6:7], v19 offset:12544                // 0000000066DC: DBC63100 06000013
	ds_read_b64_tr_b16 a[8:9], v19 offset:24576                // 0000000066E4: DBC66000 08000013
	buffer_atomic_pk_add_bf16 v110, v8, s[32:35], 0 offen      // 0000000066EC: E1481000 80086E08
	v_mfma_f32_32x32x16_bf16 v[144:159], v[92:95], v[120:123], v[144:159]// 0000000066F4: D3B70090 0642F15C
	v_subrev_f32_dpp v60, v126, v60 quad_perm:[0,0,0,0] row_mask:0xf bank_mask:0xf// 0000000066FC: 067878FA FF00007E
	v_subrev_f32_dpp v61, v126, v61 quad_perm:[1,1,1,1] row_mask:0xf bank_mask:0xf// 000000006704: 067A7AFA FF00557E
	v_subrev_f32_dpp v62, v126, v62 quad_perm:[2,2,2,2] row_mask:0xf bank_mask:0xf// 00000000670C: 067C7CFA FF00AA7E
	v_subrev_f32_dpp v63, v126, v63 quad_perm:[3,3,3,3] row_mask:0xf bank_mask:0xf// 000000006714: 067E7EFA FF00FF7E
	v_subrev_f32_dpp v64, v126, v64 quad_perm:[0,0,0,0] row_mask:0xf bank_mask:0xf// 00000000671C: 068080FA FF00007E
	v_subrev_f32_dpp v65, v126, v65 quad_perm:[1,1,1,1] row_mask:0xf bank_mask:0xf// 000000006724: 068282FA FF00557E
	v_subrev_f32_dpp v66, v126, v66 quad_perm:[2,2,2,2] row_mask:0xf bank_mask:0xf// 00000000672C: 068484FA FF00AA7E
	v_subrev_f32_dpp v67, v126, v67 quad_perm:[3,3,3,3] row_mask:0xf bank_mask:0xf// 000000006734: 068686FA FF00FF7E
	v_mul_f32_e32 v60, v36, v60                                // 00000000673C: 0A787924
	v_mul_f32_e32 v61, v37, v61                                // 000000006740: 0A7A7B25
	v_mul_f32_e32 v62, v38, v62                                // 000000006744: 0A7C7D26
	v_mul_f32_e32 v63, v39, v63                                // 000000006748: 0A7E7F27
	v_mfma_f32_32x32x16_bf16 v[160:175], v[96:99], v[120:123], v[160:175]// 00000000674C: D3B700A0 0682F160
	ds_read_b64_tr_b16 a[10:11], v19 offset:24832              // 000000006754: DBC66100 0A000013
	ds_read_b64_tr_b16 a[12:13], v19 offset:36864              // 00000000675C: DBC69000 0C000013
	ds_read_b64_tr_b16 a[14:15], v19 offset:37120              // 000000006764: DBC69100 0E000013
	ds_read_b64_tr_b16 a[16:17], v19 offset:49152              // 00000000676C: DBC6C000 10000013
	ds_read_b64_tr_b16 a[18:19], v19 offset:49408              // 000000006774: DBC6C100 12000013
	ds_read_b32 v104, v16 offset:38656                         // 00000000677C: D86C9700 68000010
	v_mfma_f32_32x32x16_bf16 v[176:191], v[100:103], v[120:123], v[176:191]// 000000006784: D3B700B0 06C2F164
	v_mul_f32_e32 v64, v40, v64                                // 00000000678C: 0A808128
	v_mul_f32_e32 v65, v41, v65                                // 000000006790: 0A828329
	v_mul_f32_e32 v66, v42, v66                                // 000000006794: 0A84852A
	v_mul_f32_e32 v67, v43, v67                                // 000000006798: 0A86872B
	v_permlane16_swap_b32_e32 v88, v90                         // 00000000679C: 7EB0B35A
	v_permlane16_swap_b32_e32 v89, v91                         // 0000000067A0: 7EB2B35B
	v_cvt_pk_bf16_f32 v60, v60, v61                            // 0000000067A4: D268003C 00027B3C
	v_cvt_pk_bf16_f32 v61, v62, v63                            // 0000000067AC: D268003D 00027F3E
	v_cvt_pk_bf16_f32 v62, v64, v65                            // 0000000067B4: D268003E 00028340
	v_cvt_pk_bf16_f32 v63, v66, v67                            // 0000000067BC: D268003F 00028742
	v_permlane16_swap_b32_e32 v92, v94                         // 0000000067C4: 7EB8B35E
	v_permlane16_swap_b32_e32 v93, v95                         // 0000000067C8: 7EBAB35F
	v_mfma_f32_16x16x16_bf16 v[192:195], v[88:89], v[124:125], v[192:195]// 0000000067CC: D3E100C0 0702F958
	buffer_atomic_pk_add_bf16 v111, v8, s[32:35], 0 offen offset:768// 0000000067D4: E1481300 80086F08
	ds_write_b64 v15, v[60:61] offset:30720                    // 0000000067DC: D89A7800 00003C0F
	ds_write_b64 v15, v[62:63] offset:33024                    // 0000000067E4: D89A8100 00003E0F
	v_mfma_f32_16x16x16_bf16 v[196:199], v[90:91], v[124:125], v[196:199]// 0000000067EC: D3E100C4 0712F95A
	v_permlane16_swap_b32_e32 v96, v98                         // 0000000067F4: 7EC0B362
	v_permlane16_swap_b32_e32 v97, v99                         // 0000000067F8: 7EC2B363
	v_subrev_f32_dpp v68, v126, v68 quad_perm:[0,0,0,0] row_mask:0xf bank_mask:0xf// 0000000067FC: 068888FA FF00007E
	v_subrev_f32_dpp v69, v126, v69 quad_perm:[1,1,1,1] row_mask:0xf bank_mask:0xf// 000000006804: 068A8AFA FF00557E
	v_mfma_f32_16x16x16_bf16 v[200:203], v[92:93], v[124:125], v[200:203]// 00000000680C: D3E100C8 0722F95C
	v_permlane16_swap_b32_e32 v100, v102                       // 000000006814: 7EC8B366
	v_permlane16_swap_b32_e32 v101, v103                       // 000000006818: 7ECAB367
	v_subrev_f32_dpp v70, v126, v70 quad_perm:[2,2,2,2] row_mask:0xf bank_mask:0xf// 00000000681C: 068C8CFA FF00AA7E
	v_subrev_f32_dpp v71, v126, v71 quad_perm:[3,3,3,3] row_mask:0xf bank_mask:0xf// 000000006824: 068E8EFA FF00FF7E
	v_mfma_f32_16x16x16_bf16 v[204:207], v[94:95], v[124:125], v[204:207]// 00000000682C: D3E100CC 0732F95E
	v_permlane16_swap_b32_e32 v60, v62                         // 000000006834: 7E78B33E
	v_permlane16_swap_b32_e32 v61, v63                         // 000000006838: 7E7AB33F
	v_mfma_f32_16x16x16_bf16 v[208:211], v[96:97], v[124:125], v[208:211]// 00000000683C: D3E100D0 0742F960
	ds_read_b64_tr_b16 a[20:21], v19 offset:61440              // 000000006844: DBC6F000 14000013
	ds_read_b64_tr_b16 a[22:23], v19 offset:61696              // 00000000684C: DBC6F100 16000013
	ds_read_b64_tr_b16 a[24:25], v20                           // 000000006854: DBC60000 18000014
	v_mfma_f32_16x16x16_bf16 v[212:215], v[98:99], v[124:125], v[212:215]// 00000000685C: D3E100D4 0752F962
	v_mul_f32_e32 v68, v44, v68                                // 000000006864: 0A88892C
	v_mul_f32_e32 v69, v45, v69                                // 000000006868: 0A8A8B2D
	v_mul_f32_e32 v70, v46, v70                                // 00000000686C: 0A8C8D2E
	v_mfma_f32_16x16x16_bf16 v[216:219], v[100:101], v[124:125], v[216:219]// 000000006870: D3E100D8 0762F964
	ds_read_b32 v126, v16 offset:38912                         // 000000006878: D86C9800 7E000010
	ds_read_b64_tr_b16 a[26:27], v20 offset:256                // 000000006880: DBC60100 1A000014
	ds_read_b64_tr_b16 a[28:29], v20 offset:12288              // 000000006888: DBC63000 1C000014
	v_mfma_f32_16x16x16_bf16 v[220:223], v[102:103], v[124:125], v[220:223]// 000000006890: D3E100DC 0772F966
	v_mul_f32_e32 v71, v47, v71                                // 000000006898: 0A8E8F2F
	v_cvt_pk_bf16_f32 v64, v68, v69                            // 00000000689C: D2680040 00028B44
	v_cvt_pk_bf16_f32 v65, v70, v71                            // 0000000068A4: D2680041 00028F46
	s_waitcnt lgkmcnt(8)                                       // 0000000068AC: BF8CC87F
	v_mfma_f32_32x32x16_bf16 a[112:127], v[224:227], v[60:63], a[112:127]// 0000000068B0: D3B78070 05C279E0
	ds_read_b64_tr_b16 a[30:31], v20 offset:12544              // 0000000068B8: DBC63100 1E000014
	ds_write_b64 v15, v[64:65] offset:35328                    // 0000000068C0: D89A8A00 0000400F
	ds_read_b64_tr_b16 a[32:33], v20 offset:24576              // 0000000068C8: DBC66000 20000014
	ds_read_b64_tr_b16 a[34:35], v20 offset:24832              // 0000000068D0: DBC66100 22000014
	v_mfma_f32_32x32x16_bf16 a[128:143], v[228:231], v[60:63], a[128:143]// 0000000068D8: D3B78080 060279E4
	v_mul_f32_e32 v104, s48, v104                              // 0000000068E0: 0AD0D030
	buffer_atomic_pk_add_bf16 v112, v9, s[32:35], 0 offen      // 0000000068E4: E1481000 80087009
	v_mfma_f32_32x32x16_bf16 a[144:159], v[232:235], v[60:63], a[144:159]// 0000000068EC: D3B78090 064279E8
	ds_read_b64_tr_b16 a[36:37], v20 offset:36864              // 0000000068F4: DBC69000 24000014
	ds_read_b64_tr_b16 a[38:39], v20 offset:37120              // 0000000068FC: DBC69100 26000014
	ds_read_b64_tr_b16 a[40:41], v20 offset:49152              // 000000006904: DBC6C000 28000014
	ds_read_b64_tr_b16 a[42:43], v20 offset:49408              // 00000000690C: DBC6C100 2A000014
	ds_read_b64_tr_b16 a[44:45], v20 offset:61440              // 000000006914: DBC6F000 2C000014
	ds_read_b64_tr_b16 a[46:47], v20 offset:61696              // 00000000691C: DBC6F100 2E000014
	v_mfma_f32_32x32x16_bf16 a[160:175], v[236:239], v[60:63], a[160:175]// 000000006924: D3B780A0 068279EC
	.long 0x7fc0b3e2                                           // 00000000692C: 7FC0B3E2
	.long 0x7fc2b3e3                                           // 000000006930: 7FC2B3E3
	s_waitcnt lgkmcnt(8)                                       // 000000006934: BF8CC87F
	s_barrier                                                  // 000000006938: BF8A0000
	v_mfma_f32_32x32x16_bf16 a[176:191], v[240:243], v[60:63], a[176:191]// 00000000693C: D3B780B0 06C279F0
	ds_read_b64_tr_b16 v[36:37], v14 offset:30720              // 000000006944: D9C67800 2400000E
	ds_read_b64_tr_b16 v[38:39], v14 offset:30752              // 00000000694C: D9C67820 2600000E
	ds_read_b64_tr_b16 v[40:41], v14 offset:31872              // 000000006954: D9C67C80 2800000E
	ds_read_b64_tr_b16 v[42:43], v14 offset:31904              // 00000000695C: D9C67CA0 2A00000E
	ds_read_b64_tr_b16 v[44:45], v14 offset:33024              // 000000006964: D9C68100 2C00000E
	ds_read_b64_tr_b16 v[46:47], v14 offset:33056              // 00000000696C: D9C68120 2E00000E
	v_mfma_f32_32x32x16_bf16 a[192:207], v[244:247], v[60:63], a[192:207]// 000000006974: D3B780C0 070279F4
	.long 0x7fc8b3e6                                           // 00000000697C: 7FC8B3E6
	.long 0x7fcab3e7                                           // 000000006980: 7FCAB3E7
	v_mov_b32_dpp v107, v104 quad_perm:[3,3,3,3] row_mask:0xf bank_mask:0xf// 000000006984: 7ED602FA FF00FF68
	v_mov_b32_dpp v106, v104 quad_perm:[2,2,2,2] row_mask:0xf bank_mask:0xf// 00000000698C: 7ED402FA FF00AA68
	v_mfma_f32_16x16x16_bf16 a[208:211], v[224:225], v[64:65], a[208:211]// 000000006994: D3E180D0 074281E0
	ds_read_b64_tr_b16 v[48:49], v14 offset:34176              // 00000000699C: D9C68580 3000000E
	ds_read_b64_tr_b16 v[50:51], v14 offset:34208              // 0000000069A4: D9C685A0 3200000E
	ds_read_b64_tr_b16 v[52:53], v14 offset:35328              // 0000000069AC: D9C68A00 3400000E
	v_mfma_f32_16x16x16_bf16 a[212:215], v[226:227], v[64:65], a[212:215]// 0000000069B4: D3E180D4 075281E2
	.long 0x7fd0b3ea                                           // 0000000069BC: 7FD0B3EA
	.long 0x7fd2b3eb                                           // 0000000069C0: 7FD2B3EB
	v_mfma_f32_16x16x16_bf16 a[216:219], v[228:229], v[64:65], a[216:219]// 0000000069C4: D3E180D8 076281E4
	ds_read_b64_tr_b16 v[54:55], v14 offset:35360              // 0000000069CC: D9C68A20 3600000E
	ds_read_b64_tr_b16 v[56:57], v14 offset:36480              // 0000000069D4: D9C68E80 3800000E
	ds_read_b64_tr_b16 v[58:59], v14 offset:36512              // 0000000069DC: D9C68EA0 3A00000E
	v_mfma_f32_16x16x16_bf16 a[220:223], v[230:231], v[64:65], a[220:223]// 0000000069E4: D3E180DC 077281E6
	v_permlane16_swap_b32_e32 v236, v238                       // 0000000069EC: 7FD8B3EE
	v_permlane16_swap_b32_e32 v237, v239                       // 0000000069F0: 7FDAB3EF
	v_mfma_f32_16x16x16_bf16 a[224:227], v[232:233], v[64:65], a[224:227]// 0000000069F4: D3E180E0 078281E8
	ds_read_b64_tr_b16 a[48:49], v21                           // 0000000069FC: DBC60000 30000015
	ds_read_b64_tr_b16 a[50:51], v21 offset:256                // 000000006A04: DBC60100 32000015
	ds_read_b64_tr_b16 a[52:53], v21 offset:12288              // 000000006A0C: DBC63000 34000015
	v_mfma_f32_16x16x16_bf16 a[228:231], v[234:235], v[64:65], a[228:231]// 000000006A14: D3E180E4 079281EA
	v_permlane16_swap_b32_e32 v240, v242                       // 000000006A1C: 7FE0B3F2
	v_permlane16_swap_b32_e32 v241, v243                       // 000000006A20: 7FE2B3F3
	v_mfma_f32_16x16x16_bf16 a[232:235], v[236:237], v[64:65], a[232:235]// 000000006A24: D3E180E8 07A281EC
	ds_read_b64_tr_b16 a[54:55], v21 offset:12544              // 000000006A2C: DBC63100 36000015
	ds_read_b64_tr_b16 a[56:57], v21 offset:24576              // 000000006A34: DBC66000 38000015
	ds_read_b64_tr_b16 a[58:59], v21 offset:24832              // 000000006A3C: DBC66100 3A000015
	v_mfma_f32_16x16x16_bf16 a[236:239], v[238:239], v[64:65], a[236:239]// 000000006A44: D3E180EC 07B281EE
	v_permlane16_swap_b32_e32 v244, v246                       // 000000006A4C: 7FE8B3F6
	v_permlane16_swap_b32_e32 v245, v247                       // 000000006A50: 7FEAB3F7
	v_mfma_f32_16x16x16_bf16 a[240:243], v[240:241], v[64:65], a[240:243]// 000000006A54: D3E180F0 07C281F0
	ds_read_b64_tr_b16 a[60:61], v21 offset:36864              // 000000006A5C: DBC69000 3C000015
	ds_read_b64_tr_b16 a[62:63], v21 offset:37120              // 000000006A64: DBC69100 3E000015
	ds_read_b64_tr_b16 v[248:249], v21 offset:49152            // 000000006A6C: D9C6C000 F8000015
	v_mfma_f32_16x16x16_bf16 a[244:247], v[242:243], v[64:65], a[244:247]// 000000006A74: D3E180F4 07D281F2
	v_mov_b32_dpp v105, v104 quad_perm:[1,1,1,1] row_mask:0xf bank_mask:0xf// 000000006A7C: 7ED202FA FF005568
	buffer_atomic_pk_add_bf16 v113, v9, s[32:35], 0 offen offset:768// 000000006A84: E1481300 80087109
	v_mfma_f32_16x16x16_bf16 a[248:251], v[244:245], v[64:65], a[248:251]// 000000006A8C: D3E180F8 07E281F4
	ds_read_b64_tr_b16 v[250:251], v21 offset:49408            // 000000006A94: D9C6C100 FA000015
	ds_read_b64_tr_b16 v[252:253], v21 offset:61440            // 000000006A9C: D9C6F000 FC000015
	ds_read_b64_tr_b16 v[254:255], v21 offset:61696            // 000000006AA4: D9C6F100 FE000015
	v_mfma_f32_16x16x16_bf16 a[252:255], v[246:247], v[64:65], a[252:255]// 000000006AAC: D3E180FC 07F281F6
	v_mov_b32_dpp v104, v104 quad_perm:[0,0,0,0] row_mask:0xf bank_mask:0xf// 000000006AB4: 7ED002FA FF000068
	s_waitcnt vmcnt(6) lgkmcnt(6)                              // 000000006ABC: BF8C0676
	s_barrier                                                  // 000000006AC0: BF8A0000
	v_mfma_f32_16x16x32_bf16 v[108:111], a[0:3], v[36:39], 0   // 000000006AC4: D3B5006C 0A024900
	ds_read_b128 v[224:227], v12 offset:12288                  // 000000006ACC: D9FE3000 E000000C
	ds_read_b128 v[228:231], v12 offset:13312                  // 000000006AD4: D9FE3400 E400000C
	v_mfma_f32_16x16x32_bf16 v[108:111], a[4:7], v[40:43], v[108:111]// 000000006ADC: D3B5006C 0DB25104
	s_mov_b32 m0, s80                                          // 000000006AE4: BEFC0050
	buffer_load_dwordx4 v1, s[8:11], 0 idxen lds               // 000000006AE8: E05D2000 80020001
	v_mfma_f32_16x16x32_bf16 v[108:111], a[8:11], v[44:47], v[108:111]// 000000006AF0: D3B5006C 0DB25908
	ds_read_b128 v[232:235], v12 offset:14336                  // 000000006AF8: D9FE3800 E800000C
	ds_read_b128 v[236:239], v12 offset:15360                  // 000000006B00: D9FE3C00 EC00000C
	v_mfma_f32_16x16x32_bf16 v[108:111], a[12:15], v[48:51], v[108:111]// 000000006B08: D3B5006C 0DB2610C
	s_mov_b32 m0, s81                                          // 000000006B10: BEFC0051
	buffer_load_dword v2, s[8:11], 0 idxen lds                 // 000000006B14: E0512000 80020002
	v_mfma_f32_16x16x32_bf16 v[108:111], a[16:19], v[52:55], v[108:111]// 000000006B1C: D3B5006C 0DB26910
	ds_read_b128 v[240:243], v12 offset:16384                  // 000000006B24: D9FE4000 F000000C
	ds_read_b128 v[244:247], v12 offset:17408                  // 000000006B2C: D9FE4400 F400000C
	v_mfma_f32_16x16x32_bf16 v[108:111], a[20:23], v[56:59], v[108:111]// 000000006B34: D3B5006C 0DB27114
	s_mov_b32 m0, s82                                          // 000000006B3C: BEFC0052
	buffer_load_dword v3, s[8:11], 0 idxen lds                 // 000000006B40: E0512000 80020003
	v_mfma_f32_16x16x32_bf16 v[112:115], a[24:27], v[36:39], 0 // 000000006B48: D3B50070 0A024918
	ds_read_b128 a[0:3], v17                                   // 000000006B50: DBFE0000 00000011
	ds_read_b128 a[4:7], v17 offset:1024                       // 000000006B58: DBFE0400 04000011
	v_mfma_f32_16x16x32_bf16 v[112:115], a[28:31], v[40:43], v[112:115]// 000000006B60: D3B50070 0DC2511C
	s_mov_b32 m0, s87                                          // 000000006B68: BEFC0057
	buffer_load_dwordx4 v4, s[20:23], 0 idxen lds              // 000000006B6C: E05D2000 80050004
	v_mfma_f32_16x16x32_bf16 v[112:115], a[32:35], v[44:47], v[112:115]// 000000006B74: D3B50070 0DC25920
	ds_read_b128 a[8:11], v17 offset:2048                      // 000000006B7C: DBFE0800 08000011
	ds_read_b128 a[12:15], v17 offset:3072                     // 000000006B84: DBFE0C00 0C000011
	v_mfma_f32_16x16x32_bf16 v[112:115], a[36:39], v[48:51], v[112:115]// 000000006B8C: D3B50070 0DC26124
	v_mul_f32_e32 v108, s47, v108                              // 000000006B94: 0AD8D82F
	v_mul_f32_e32 v109, s47, v109                              // 000000006B98: 0ADADA2F
	s_mov_b32 m0, s75                                          // 000000006B9C: BEFC004B
	buffer_load_dword v11, s[24:27], 0 idxen lds               // 000000006BA0: E0512000 8006000B
	v_mfma_f32_16x16x32_bf16 v[112:115], a[40:43], v[52:55], v[112:115]// 000000006BA8: D3B50070 0DC26928
	ds_read_b128 a[16:19], v17 offset:4096                     // 000000006BB0: DBFE1000 10000011
	ds_read_b128 a[20:23], v17 offset:5120                     // 000000006BB8: DBFE1400 14000011
	v_mfma_f32_16x16x32_bf16 v[112:115], a[44:47], v[56:59], v[112:115]// 000000006BC0: D3B50070 0DC2712C
	s_add_u32 s60, 64, s59                                     // 000000006BC8: 803C3BC0
	s_cmp_lt_u32 s60, s58                                      // 000000006BCC: BF0A3A3C
	s_cselect_b32 s68, s68, 0                                  // 000000006BD0: 85448044
	s_cselect_b32 s97, s97, 0                                  // 000000006BD4: 85618061
	s_cselect_b32 s69, s69, 0                                  // 000000006BD8: 85458045
	v_mfma_f32_16x16x32_bf16 v[116:119], a[48:51], v[36:39], 0 // 000000006BDC: D3B50074 0A024930
	ds_read_b128 a[24:27], v17 offset:24576                    // 000000006BE4: DBFE6000 18000011
	ds_read_b128 a[28:31], v17 offset:25600                    // 000000006BEC: DBFE6400 1C000011
	v_mfma_f32_16x16x32_bf16 v[116:119], a[52:55], v[40:43], v[116:119]// 000000006BF4: D3B50074 0DD25134
	v_add_u32_e32 v1, s68, v1                                  // 000000006BFC: 68020244
	v_add_u32_e32 v2, s68, v2                                  // 000000006C00: 68040444
	v_add_u32_e32 v3, s68, v3                                  // 000000006C04: 68060644
	v_add_u32_e32 v4, s97, v4                                  // 000000006C08: 68080861
	v_add_u32_e32 v11, s69, v11                                // 000000006C0C: 68161645
	s_waitcnt lgkmcnt(14)                                      // 000000006C10: BF8CCE7F
	v_mfma_f32_16x16x32_bf16 v[116:119], a[56:59], v[44:47], v[116:119]// 000000006C14: D3B50074 0DD25938
	ds_read_b128 a[32:35], v17 offset:26624                    // 000000006C1C: DBFE6800 20000011
	ds_read_b128 a[36:39], v17 offset:27648                    // 000000006C24: DBFE6C00 24000011
	v_mfma_f32_16x16x32_bf16 v[116:119], a[60:63], v[48:51], v[116:119]// 000000006C2C: D3B50074 0DD2613C
	v_mul_f32_e32 v110, s47, v110                              // 000000006C34: 0ADCDC2F
	v_mul_f32_e32 v111, s47, v111                              // 000000006C38: 0ADEDE2F
	s_cmp_ge_u32 s59, 16                                       // 000000006C3C: BF09903B
	s_cselect_b32 s66, s67, s66                                // 000000006C40: 85424243
	v_mfma_f32_16x16x32_bf16 v[116:119], v[248:251], v[52:55], v[116:119]// 000000006C44: D3B50074 05D269F8
	ds_read_b128 a[40:43], v17 offset:28672                    // 000000006C4C: DBFE7000 28000011
	ds_read_b128 a[44:47], v17 offset:29696                    // 000000006C54: DBFE7400 2C000011
	v_mfma_f32_16x16x32_bf16 v[116:119], v[252:255], v[56:59], v[116:119]// 000000006C5C: D3B50074 05D271FC
	s_addk_i32 s59, 0x10                                       // 000000006C64: B73B0010
	v_mul_f32_e32 v112, s47, v112                              // 000000006C68: 0AE0E02F
	v_mul_f32_e32 v113, s47, v113                              // 000000006C6C: 0AE2E22F
	s_cmp_lt_i32 s59, s58                                      // 000000006C70: BF043A3B
	s_cbranch_scc0 label_0DB7                                  // 000000006C74: BF84028A
	s_waitcnt lgkmcnt(2)                                       // 000000006C78: BF8CC27F
	v_mfma_f32_16x16x32_bf16 v[36:39], v[224:227], a[0:3], 0   // 000000006C7C: D3B50024 120201E0
	ds_read_b128 a[48:51], v17 offset:49152                    // 000000006C84: DBFEC000 30000011
	ds_read_b128 a[52:55], v17 offset:50176                    // 000000006C8C: DBFEC400 34000011
	v_mfma_f32_16x16x32_bf16 v[36:39], v[228:231], a[4:7], v[36:39]// 000000006C94: D3B50024 149209E4
	v_add_u32_e32 v7, s66, v7                                  // 000000006C9C: 680E0E42
	v_add_u32_e32 v8, s66, v8                                  // 000000006CA0: 68101042
	v_add_u32_e32 v9, s66, v9                                  // 000000006CA4: 68121242
	v_mfma_f32_16x16x32_bf16 v[36:39], v[232:235], a[8:11], v[36:39]// 000000006CA8: D3B50024 149211E8
	ds_read_b128 a[56:59], v17 offset:51200                    // 000000006CB0: DBFEC800 38000011
	ds_read_b128 a[60:63], v17 offset:52224                    // 000000006CB8: DBFECC00 3C000011
	v_mfma_f32_16x16x32_bf16 v[36:39], v[236:239], a[12:15], v[36:39]// 000000006CC0: D3B50024 149219EC
	v_cvt_pk_bf16_f32 v108, v108, v109                         // 000000006CC8: D268006C 0002DB6C
	v_cvt_pk_bf16_f32 v109, v110, v111                         // 000000006CD0: D268006D 0002DF6E
	v_mfma_f32_16x16x32_bf16 v[36:39], v[240:243], a[16:19], v[36:39]// 000000006CD8: D3B50024 149221F0
	ds_read_b128 v[248:251], v17 offset:53248                  // 000000006CE0: D9FED000 F8000011
	ds_read_b128 v[252:255], v17 offset:54272                  // 000000006CE8: D9FED400 FC000011
	v_mfma_f32_16x16x32_bf16 v[36:39], v[244:247], a[20:23], v[36:39]// 000000006CF0: D3B50024 149229F4
	v_mul_f32_e32 v114, s47, v114                              // 000000006CF8: 0AE4E42F
	v_mul_f32_e32 v115, s47, v115                              // 000000006CFC: 0AE6E62F
	v_mfma_f32_16x16x32_bf16 v[40:43], v[224:227], a[24:27], 0 // 000000006D00: D3B50028 120231E0
	ds_read_b128 v[72:75], v12 offset:26624                    // 000000006D08: D9FE6800 4800000C
	ds_read_b128 v[76:79], v12 offset:27648                    // 000000006D10: D9FE6C00 4C00000C
	v_mfma_f32_16x16x32_bf16 v[40:43], v[228:231], a[28:31], v[40:43]// 000000006D18: D3B50028 14A239E4
	v_mul_f32_e32 v116, s47, v116                              // 000000006D20: 0AE8E82F
	v_mul_f32_e32 v117, s47, v117                              // 000000006D24: 0AEAEA2F
	v_mfma_f32_16x16x32_bf16 v[40:43], v[232:235], a[32:35], v[40:43]// 000000006D28: D3B50028 14A241E8
	ds_read_b128 v[80:83], v12 offset:28672                    // 000000006D30: D9FE7000 5000000C
	ds_read_b128 v[84:87], v12 offset:29696                    // 000000006D38: D9FE7400 5400000C
	v_mfma_f32_16x16x32_bf16 v[40:43], v[236:239], a[36:39], v[40:43]// 000000006D40: D3B50028 14A249EC
	v_mul_f32_e32 v118, s47, v118                              // 000000006D48: 0AECEC2F
	v_mul_f32_e32 v119, s47, v119                              // 000000006D4C: 0AEEEE2F
	v_cvt_pk_bf16_f32 v110, v112, v113                         // 000000006D50: D268006E 0002E370
	v_cvt_pk_bf16_f32 v111, v114, v115                         // 000000006D58: D268006F 0002E772
	s_waitcnt lgkmcnt(10)                                      // 000000006D60: BF8CCA7F
	v_mfma_f32_16x16x32_bf16 v[40:43], v[240:243], a[40:43], v[40:43]// 000000006D64: D3B50028 14A251F0
	ds_read_b64_tr_b16 v[88:89], v13 offset:26624              // 000000006D6C: D9C66800 5800000D
	ds_read_b64_tr_b16 v[90:91], v13 offset:26880              // 000000006D74: D9C66900 5A00000D
	v_mfma_f32_16x16x32_bf16 v[40:43], v[244:247], a[44:47], v[40:43]// 000000006D7C: D3B50028 14A259F4
	v_fma_f32 v36, v36, s57, -v104                             // 000000006D84: D1CB0024 85A07324
	v_fma_f32 v37, v37, s57, -v105                             // 000000006D8C: D1CB0025 85A47325
	s_waitcnt lgkmcnt(10)                                      // 000000006D94: BF8CCA7F
	v_mfma_f32_16x16x32_bf16 v[44:47], v[224:227], a[48:51], 0 // 000000006D98: D3B5002C 120261E0
	ds_read_b64_tr_b16 v[92:93], v13 offset:27648              // 000000006DA0: D9C66C00 5C00000D
	ds_read_b64_tr_b16 v[94:95], v13 offset:27904              // 000000006DA8: D9C66D00 5E00000D
	v_mfma_f32_16x16x32_bf16 v[44:47], v[228:231], a[52:55], v[44:47]// 000000006DB0: D3B5002C 14B269E4
	v_fma_f32 v38, v38, s57, -v106                             // 000000006DB8: D1CB0026 85A87326
	v_fma_f32 v39, v39, s57, -v107                             // 000000006DC0: D1CB0027 85AC7327
	s_waitcnt lgkmcnt(10)                                      // 000000006DC8: BF8CCA7F
	v_mfma_f32_16x16x32_bf16 v[44:47], v[232:235], a[56:59], v[44:47]// 000000006DCC: D3B5002C 14B271E8
	ds_read_b64_tr_b16 v[96:97], v13 offset:28672              // 000000006DD4: D9C67000 6000000D
	ds_read_b64_tr_b16 v[98:99], v13 offset:28928              // 000000006DDC: D9C67100 6200000D
	v_mfma_f32_16x16x32_bf16 v[44:47], v[236:239], a[60:63], v[44:47]// 000000006DE4: D3B5002C 14B279EC
	v_fma_f32 v40, v40, s57, -v104                             // 000000006DEC: D1CB0028 85A07328
	v_fma_f32 v41, v41, s57, -v105                             // 000000006DF4: D1CB0029 85A47329
	v_cvt_pk_bf16_f32 v112, v116, v117                         // 000000006DFC: D2680070 0002EB74
	v_cvt_pk_bf16_f32 v113, v118, v119                         // 000000006E04: D2680071 0002EF76
	s_waitcnt lgkmcnt(10)                                      // 000000006E0C: BF8CCA7F
	v_mfma_f32_16x16x32_bf16 v[44:47], v[240:243], v[248:251], v[44:47]// 000000006E10: D3B5002C 04B3F1F0
	ds_read_b64_tr_b16 v[100:101], v13 offset:29696            // 000000006E18: D9C67400 6400000D
	ds_read_b64_tr_b16 v[102:103], v13 offset:29952            // 000000006E20: D9C67500 6600000D
	v_mfma_f32_16x16x32_bf16 v[44:47], v[244:247], v[252:255], v[44:47]// 000000006E28: D3B5002C 04B3F9F4
	v_fma_f32 v42, v42, s57, -v106                             // 000000006E30: D1CB002A 85A8732A
	v_fma_f32 v43, v43, s57, -v107                             // 000000006E38: D1CB002B 85AC732B
	s_cmp_lt_i32 s98, 0xc0                                     // 000000006E40: BF04FF62 000000C0
	s_cbranch_scc0 label_0BEF                                  // 000000006E48: BF84004D
	s_cmp_le_i32 s98, 64                                       // 000000006E4C: BF05C062
	s_cbranch_scc1 label_0BA6                                  // 000000006E50: BF850007
	s_cmp_le_i32 s98, 0x80                                     // 000000006E54: BF05FF62 00000080
	s_cbranch_scc1 label_0BBE                                  // 000000006E5C: BF850017
	s_cmp_lt_i32 s98, 0xc0                                     // 000000006E60: BF04FF62 000000C0
	s_cbranch_scc1 label_0BD6                                  // 000000006E68: BF85002C
	s_branch label_0BEF                                        // 000000006E6C: BF820044

0000000000006e70 <label_0BA6>:
	s_mov_b32 s60, 0                                           // 000000006E70: BEBC0080
	v_and_b32_e32 v32, 15, v0                                  // 000000006E74: 2640008F
	v_add_u32_e64 v32, v32, s60                                // 000000006E78: D1340020 00007920
	v_mul_i32_i24_e64 v33, s46, 16                             // 000000006E80: D1060021 0001202E
	v_add_u32_e32 v32, v32, v33                                // 000000006E88: 68404320
	v_cmp_lt_u32_e64 s[60:61], v32, s98                        // 000000006E8C: D0C9003C 0000C520
	s_nop 1                                                    // 000000006E94: BF800001
	v_cndmask_b32_e64 v36, v127, v36, s[60:61]                 // 000000006E98: D1000024 00F2497F
	v_cndmask_b32_e64 v37, v127, v37, s[60:61]                 // 000000006EA0: D1000025 00F24B7F
	v_cndmask_b32_e64 v38, v127, v38, s[60:61]                 // 000000006EA8: D1000026 00F24D7F
	v_cndmask_b32_e64 v39, v127, v39, s[60:61]                 // 000000006EB0: D1000027 00F24F7F
	s_branch label_0BD1                                        // 000000006EB8: BF820013

0000000000006ebc <label_0BBE>:
	s_mov_b32 s60, 64                                          // 000000006EBC: BEBC00C0
	v_and_b32_e32 v32, 15, v0                                  // 000000006EC0: 2640008F
	v_add_u32_e64 v32, v32, s60                                // 000000006EC4: D1340020 00007920
	v_mul_i32_i24_e64 v33, s46, 16                             // 000000006ECC: D1060021 0001202E
	v_add_u32_e32 v32, v32, v33                                // 000000006ED4: 68404320
	v_cmp_lt_u32_e64 s[60:61], v32, s98                        // 000000006ED8: D0C9003C 0000C520
	s_nop 1                                                    // 000000006EE0: BF800001
	v_cndmask_b32_e64 v40, v127, v40, s[60:61]                 // 000000006EE4: D1000028 00F2517F
	v_cndmask_b32_e64 v41, v127, v41, s[60:61]                 // 000000006EEC: D1000029 00F2537F
	v_cndmask_b32_e64 v42, v127, v42, s[60:61]                 // 000000006EF4: D100002A 00F2557F
	v_cndmask_b32_e64 v43, v127, v43, s[60:61]                 // 000000006EFC: D100002B 00F2577F
	s_branch label_0BEA                                        // 000000006F04: BF820019

0000000000006f08 <label_0BD1>:
	v_mov_b32_e32 v40, v127                                    // 000000006F08: 7E50037F
	v_mov_b32_e32 v41, v127                                    // 000000006F0C: 7E52037F
	v_mov_b32_e32 v42, v127                                    // 000000006F10: 7E54037F
	v_mov_b32_e32 v43, v127                                    // 000000006F14: 7E56037F
	s_branch label_0BEA                                        // 000000006F18: BF820014

0000000000006f1c <label_0BD6>:
	s_mov_b32 s60, 0x80                                        // 000000006F1C: BEBC00FF 00000080
	v_and_b32_e32 v32, 15, v0                                  // 000000006F24: 2640008F
	v_add_u32_e64 v32, v32, s60                                // 000000006F28: D1340020 00007920
	v_mul_i32_i24_e64 v33, s46, 16                             // 000000006F30: D1060021 0001202E
	v_add_u32_e32 v32, v32, v33                                // 000000006F38: 68404320
	v_cmp_lt_u32_e64 s[60:61], v32, s98                        // 000000006F3C: D0C9003C 0000C520
	s_nop 1                                                    // 000000006F44: BF800001
	v_cndmask_b32_e64 v44, v127, v44, s[60:61]                 // 000000006F48: D100002C 00F2597F
	v_cndmask_b32_e64 v45, v127, v45, s[60:61]                 // 000000006F50: D100002D 00F25B7F
	v_cndmask_b32_e64 v46, v127, v46, s[60:61]                 // 000000006F58: D100002E 00F25D7F
	v_cndmask_b32_e64 v47, v127, v47, s[60:61]                 // 000000006F60: D100002F 00F25F7F
	s_branch label_0BEF                                        // 000000006F68: BF820005

0000000000006f6c <label_0BEA>:
	v_mov_b32_e32 v44, v127                                    // 000000006F6C: 7E58037F
	v_mov_b32_e32 v45, v127                                    // 000000006F70: 7E5A037F
	v_mov_b32_e32 v46, v127                                    // 000000006F74: 7E5C037F
	v_mov_b32_e32 v47, v127                                    // 000000006F78: 7E5E037F
	s_branch label_0BEF                                        // 000000006F7C: BF820000

0000000000006f80 <label_0BEF>:
	s_waitcnt lgkmcnt(8)                                       // 000000006F80: BF8CC87F
	v_mfma_f32_16x16x32_bf16 v[60:63], v[72:75], a[64:67], 0   // 000000006F84: D3B5003C 12028148
	v_exp_f32_e32 v36, v36                                     // 000000006F8C: 7E484124
	v_exp_f32_e32 v37, v37                                     // 000000006F90: 7E4A4125
	v_mfma_f32_16x16x32_bf16 v[60:63], v[76:79], a[68:71], v[60:63]// 000000006F94: D3B5003C 14F2894C
	v_exp_f32_e32 v38, v38                                     // 000000006F9C: 7E4C4126
	v_exp_f32_e32 v39, v39                                     // 000000006FA0: 7E4E4127
	v_mfma_f32_16x16x32_bf16 v[60:63], v[80:83], a[72:75], v[60:63]// 000000006FA4: D3B5003C 14F29150
	ds_read_b64_tr_b16 v[224:225], v13 offset:12288            // 000000006FAC: D9C63000 E000000D
	ds_read_b64_tr_b16 v[226:227], v13 offset:12544            // 000000006FB4: D9C63100 E200000D
	ds_read_b64_tr_b16 v[228:229], v13 offset:13312            // 000000006FBC: D9C63400 E400000D
	ds_read_b64_tr_b16 v[230:231], v13 offset:13568            // 000000006FC4: D9C63500 E600000D
	v_mfma_f32_16x16x32_bf16 v[60:63], v[84:87], a[76:79], v[60:63]// 000000006FCC: D3B5003C 14F29954
	v_fma_f32 v44, v44, s57, -v104                             // 000000006FD4: D1CB002C 85A0732C
	v_fma_f32 v45, v45, s57, -v105                             // 000000006FDC: D1CB002D 85A4732D
	v_exp_f32_e32 v40, v40                                     // 000000006FE4: 7E504128
	v_exp_f32_e32 v41, v41                                     // 000000006FE8: 7E524129
	buffer_atomic_pk_add_bf16 v108, v7, s[32:35], 0 offen      // 000000006FEC: E1481000 80086C07
	v_mfma_f32_16x16x32_bf16 v[64:67], v[72:75], a[80:83], 0   // 000000006FF4: D3B50040 1202A148
	ds_read_b64_tr_b16 v[232:233], v13 offset:14336            // 000000006FFC: D9C63800 E800000D
	ds_read_b64_tr_b16 v[234:235], v13 offset:14592            // 000000007004: D9C63900 EA00000D
	ds_read_b64_tr_b16 v[236:237], v13 offset:15360            // 00000000700C: D9C63C00 EC00000D
	ds_read_b64_tr_b16 v[238:239], v13 offset:15616            // 000000007014: D9C63D00 EE00000D
	v_mfma_f32_16x16x32_bf16 v[64:67], v[76:79], a[84:87], v[64:67]// 00000000701C: D3B50040 1502A94C
	v_fma_f32 v46, v46, s57, -v106                             // 000000007024: D1CB002E 85A8732E
	v_fma_f32 v47, v47, s57, -v107                             // 00000000702C: D1CB002F 85AC732F
	v_exp_f32_e32 v42, v42                                     // 000000007034: 7E54412A
	v_exp_f32_e32 v43, v43                                     // 000000007038: 7E56412B
	v_mfma_f32_16x16x32_bf16 v[64:67], v[80:83], a[88:91], v[64:67]// 00000000703C: D3B50040 1502B150
	v_exp_f32_e32 v44, v44                                     // 000000007044: 7E58412C
	v_exp_f32_e32 v45, v45                                     // 000000007048: 7E5A412D
	v_mfma_f32_16x16x32_bf16 v[64:67], v[84:87], a[92:95], v[64:67]// 00000000704C: D3B50040 1502B954
	v_cvt_pk_bf16_f32 v120, v36, v37                           // 000000007054: D2680078 00024B24
	v_cvt_pk_bf16_f32 v121, v38, v39                           // 00000000705C: D2680079 00024F26
	v_cvt_pk_bf16_f32 v122, v40, v41                           // 000000007064: D268007A 00025328
	v_cvt_pk_bf16_f32 v123, v42, v43                           // 00000000706C: D268007B 0002572A
	v_mfma_f32_16x16x32_bf16 v[68:71], v[72:75], a[96:99], 0   // 000000007074: D3B50044 1202C148
	v_exp_f32_e32 v46, v46                                     // 00000000707C: 7E5C412E
	v_exp_f32_e32 v47, v47                                     // 000000007080: 7E5E412F
	v_mfma_f32_16x16x32_bf16 v[68:71], v[76:79], a[100:103], v[68:71]// 000000007084: D3B50044 1512C94C
	v_permlane16_swap_b32_e32 v120, v122                       // 00000000708C: 7EF0B37A
	v_permlane16_swap_b32_e32 v121, v123                       // 000000007090: 7EF2B37B
	v_mfma_f32_16x16x32_bf16 v[68:71], v[80:83], a[104:107], v[68:71]// 000000007094: D3B50044 1512D150
	ds_read_b64_tr_b16 v[240:241], v13 offset:16384            // 00000000709C: D9C64000 F000000D
	ds_read_b64_tr_b16 v[242:243], v13 offset:16640            // 0000000070A4: D9C64100 F200000D
	ds_read_b64_tr_b16 v[244:245], v13 offset:17408            // 0000000070AC: D9C64400 F400000D
	ds_read_b64_tr_b16 v[246:247], v13 offset:17664            // 0000000070B4: D9C64500 F600000D
	v_mfma_f32_16x16x32_bf16 v[68:71], v[84:87], a[108:111], v[68:71]// 0000000070BC: D3B50044 1512D954
	v_cvt_pk_bf16_f32 v124, v44, v45                           // 0000000070C4: D268007C 00025B2C
	v_cvt_pk_bf16_f32 v125, v46, v47                           // 0000000070CC: D268007D 00025F2E
	buffer_atomic_pk_add_bf16 v109, v7, s[32:35], 0 offen offset:768// 0000000070D4: E1481300 80086D07
	s_waitcnt lgkmcnt(12)                                      // 0000000070DC: BF8CCC7F
	v_mfma_f32_32x32x16_bf16 v[128:143], v[88:91], v[120:123], v[128:143]// 0000000070E0: D3B70080 0602F158
	ds_read_b64_tr_b16 a[0:1], v19                             // 0000000070E8: DBC60000 00000013
	ds_read_b64_tr_b16 a[2:3], v19 offset:256                  // 0000000070F0: DBC60100 02000013
	ds_read_b64_tr_b16 a[4:5], v19 offset:12288                // 0000000070F8: DBC63000 04000013
	ds_read_b64_tr_b16 a[6:7], v19 offset:12544                // 000000007100: DBC63100 06000013
	ds_read_b64_tr_b16 a[8:9], v19 offset:24576                // 000000007108: DBC66000 08000013
	buffer_atomic_pk_add_bf16 v110, v8, s[32:35], 0 offen      // 000000007110: E1481000 80086E08
	v_mfma_f32_32x32x16_bf16 v[144:159], v[92:95], v[120:123], v[144:159]// 000000007118: D3B70090 0642F15C
	v_subrev_f32_dpp v60, v126, v60 quad_perm:[0,0,0,0] row_mask:0xf bank_mask:0xf// 000000007120: 067878FA FF00007E
	v_subrev_f32_dpp v61, v126, v61 quad_perm:[1,1,1,1] row_mask:0xf bank_mask:0xf// 000000007128: 067A7AFA FF00557E
	v_subrev_f32_dpp v62, v126, v62 quad_perm:[2,2,2,2] row_mask:0xf bank_mask:0xf// 000000007130: 067C7CFA FF00AA7E
	v_subrev_f32_dpp v63, v126, v63 quad_perm:[3,3,3,3] row_mask:0xf bank_mask:0xf// 000000007138: 067E7EFA FF00FF7E
	v_subrev_f32_dpp v64, v126, v64 quad_perm:[0,0,0,0] row_mask:0xf bank_mask:0xf// 000000007140: 068080FA FF00007E
	v_subrev_f32_dpp v65, v126, v65 quad_perm:[1,1,1,1] row_mask:0xf bank_mask:0xf// 000000007148: 068282FA FF00557E
	v_subrev_f32_dpp v66, v126, v66 quad_perm:[2,2,2,2] row_mask:0xf bank_mask:0xf// 000000007150: 068484FA FF00AA7E
	v_subrev_f32_dpp v67, v126, v67 quad_perm:[3,3,3,3] row_mask:0xf bank_mask:0xf// 000000007158: 068686FA FF00FF7E
	v_mul_f32_e32 v60, v36, v60                                // 000000007160: 0A787924
	v_mul_f32_e32 v61, v37, v61                                // 000000007164: 0A7A7B25
	v_mul_f32_e32 v62, v38, v62                                // 000000007168: 0A7C7D26
	v_mul_f32_e32 v63, v39, v63                                // 00000000716C: 0A7E7F27
	v_mfma_f32_32x32x16_bf16 v[160:175], v[96:99], v[120:123], v[160:175]// 000000007170: D3B700A0 0682F160
	ds_read_b64_tr_b16 a[10:11], v19 offset:24832              // 000000007178: DBC66100 0A000013
	ds_read_b64_tr_b16 a[12:13], v19 offset:36864              // 000000007180: DBC69000 0C000013
	ds_read_b64_tr_b16 a[14:15], v19 offset:37120              // 000000007188: DBC69100 0E000013
	ds_read_b64_tr_b16 a[16:17], v19 offset:49152              // 000000007190: DBC6C000 10000013
	ds_read_b64_tr_b16 a[18:19], v19 offset:49408              // 000000007198: DBC6C100 12000013
	ds_read_b32 v104, v16 offset:37632                         // 0000000071A0: D86C9300 68000010
	v_mfma_f32_32x32x16_bf16 v[176:191], v[100:103], v[120:123], v[176:191]// 0000000071A8: D3B700B0 06C2F164
	v_mul_f32_e32 v64, v40, v64                                // 0000000071B0: 0A808128
	v_mul_f32_e32 v65, v41, v65                                // 0000000071B4: 0A828329
	v_mul_f32_e32 v66, v42, v66                                // 0000000071B8: 0A84852A
	v_mul_f32_e32 v67, v43, v67                                // 0000000071BC: 0A86872B
	v_permlane16_swap_b32_e32 v88, v90                         // 0000000071C0: 7EB0B35A
	v_permlane16_swap_b32_e32 v89, v91                         // 0000000071C4: 7EB2B35B
	v_cvt_pk_bf16_f32 v60, v60, v61                            // 0000000071C8: D268003C 00027B3C
	v_cvt_pk_bf16_f32 v61, v62, v63                            // 0000000071D0: D268003D 00027F3E
	v_cvt_pk_bf16_f32 v62, v64, v65                            // 0000000071D8: D268003E 00028340
	v_cvt_pk_bf16_f32 v63, v66, v67                            // 0000000071E0: D268003F 00028742
	v_permlane16_swap_b32_e32 v92, v94                         // 0000000071E8: 7EB8B35E
	v_permlane16_swap_b32_e32 v93, v95                         // 0000000071EC: 7EBAB35F
	v_mfma_f32_16x16x16_bf16 v[192:195], v[88:89], v[124:125], v[192:195]// 0000000071F0: D3E100C0 0702F958
	buffer_atomic_pk_add_bf16 v111, v8, s[32:35], 0 offen offset:768// 0000000071F8: E1481300 80086F08
	ds_write_b64 v15, v[60:61] offset:30720                    // 000000007200: D89A7800 00003C0F
	ds_write_b64 v15, v[62:63] offset:33024                    // 000000007208: D89A8100 00003E0F
	v_mfma_f32_16x16x16_bf16 v[196:199], v[90:91], v[124:125], v[196:199]// 000000007210: D3E100C4 0712F95A
	v_permlane16_swap_b32_e32 v96, v98                         // 000000007218: 7EC0B362
	v_permlane16_swap_b32_e32 v97, v99                         // 00000000721C: 7EC2B363
	v_subrev_f32_dpp v68, v126, v68 quad_perm:[0,0,0,0] row_mask:0xf bank_mask:0xf// 000000007220: 068888FA FF00007E
	v_subrev_f32_dpp v69, v126, v69 quad_perm:[1,1,1,1] row_mask:0xf bank_mask:0xf// 000000007228: 068A8AFA FF00557E
	v_mfma_f32_16x16x16_bf16 v[200:203], v[92:93], v[124:125], v[200:203]// 000000007230: D3E100C8 0722F95C
	v_permlane16_swap_b32_e32 v100, v102                       // 000000007238: 7EC8B366
	v_permlane16_swap_b32_e32 v101, v103                       // 00000000723C: 7ECAB367
	v_subrev_f32_dpp v70, v126, v70 quad_perm:[2,2,2,2] row_mask:0xf bank_mask:0xf// 000000007240: 068C8CFA FF00AA7E
	v_subrev_f32_dpp v71, v126, v71 quad_perm:[3,3,3,3] row_mask:0xf bank_mask:0xf// 000000007248: 068E8EFA FF00FF7E
	v_mfma_f32_16x16x16_bf16 v[204:207], v[94:95], v[124:125], v[204:207]// 000000007250: D3E100CC 0732F95E
	v_permlane16_swap_b32_e32 v60, v62                         // 000000007258: 7E78B33E
	v_permlane16_swap_b32_e32 v61, v63                         // 00000000725C: 7E7AB33F
	v_mfma_f32_16x16x16_bf16 v[208:211], v[96:97], v[124:125], v[208:211]// 000000007260: D3E100D0 0742F960
	ds_read_b64_tr_b16 a[20:21], v19 offset:61440              // 000000007268: DBC6F000 14000013
	ds_read_b64_tr_b16 a[22:23], v19 offset:61696              // 000000007270: DBC6F100 16000013
	ds_read_b64_tr_b16 a[24:25], v20                           // 000000007278: DBC60000 18000014
	v_mfma_f32_16x16x16_bf16 v[212:215], v[98:99], v[124:125], v[212:215]// 000000007280: D3E100D4 0752F962
	v_mul_f32_e32 v68, v44, v68                                // 000000007288: 0A88892C
	v_mul_f32_e32 v69, v45, v69                                // 00000000728C: 0A8A8B2D
	v_mul_f32_e32 v70, v46, v70                                // 000000007290: 0A8C8D2E
	v_mfma_f32_16x16x16_bf16 v[216:219], v[100:101], v[124:125], v[216:219]// 000000007294: D3E100D8 0762F964
	ds_read_b32 v126, v16 offset:37888                         // 00000000729C: D86C9400 7E000010
	ds_read_b64_tr_b16 a[26:27], v20 offset:256                // 0000000072A4: DBC60100 1A000014
	ds_read_b64_tr_b16 a[28:29], v20 offset:12288              // 0000000072AC: DBC63000 1C000014
	v_mfma_f32_16x16x16_bf16 v[220:223], v[102:103], v[124:125], v[220:223]// 0000000072B4: D3E100DC 0772F966
	v_mul_f32_e32 v71, v47, v71                                // 0000000072BC: 0A8E8F2F
	v_cvt_pk_bf16_f32 v64, v68, v69                            // 0000000072C0: D2680040 00028B44
	v_cvt_pk_bf16_f32 v65, v70, v71                            // 0000000072C8: D2680041 00028F46
	s_waitcnt lgkmcnt(8)                                       // 0000000072D0: BF8CC87F
	v_mfma_f32_32x32x16_bf16 a[112:127], v[224:227], v[60:63], a[112:127]// 0000000072D4: D3B78070 05C279E0
	ds_read_b64_tr_b16 a[30:31], v20 offset:12544              // 0000000072DC: DBC63100 1E000014
	ds_write_b64 v15, v[64:65] offset:35328                    // 0000000072E4: D89A8A00 0000400F
	ds_read_b64_tr_b16 a[32:33], v20 offset:24576              // 0000000072EC: DBC66000 20000014
	ds_read_b64_tr_b16 a[34:35], v20 offset:24832              // 0000000072F4: DBC66100 22000014
	v_mfma_f32_32x32x16_bf16 a[128:143], v[228:231], v[60:63], a[128:143]// 0000000072FC: D3B78080 060279E4
	v_mul_f32_e32 v104, s48, v104                              // 000000007304: 0AD0D030
	buffer_atomic_pk_add_bf16 v112, v9, s[32:35], 0 offen      // 000000007308: E1481000 80087009
	v_mfma_f32_32x32x16_bf16 a[144:159], v[232:235], v[60:63], a[144:159]// 000000007310: D3B78090 064279E8
	ds_read_b64_tr_b16 a[36:37], v20 offset:36864              // 000000007318: DBC69000 24000014
	ds_read_b64_tr_b16 a[38:39], v20 offset:37120              // 000000007320: DBC69100 26000014
	ds_read_b64_tr_b16 a[40:41], v20 offset:49152              // 000000007328: DBC6C000 28000014
	ds_read_b64_tr_b16 a[42:43], v20 offset:49408              // 000000007330: DBC6C100 2A000014
	ds_read_b64_tr_b16 a[44:45], v20 offset:61440              // 000000007338: DBC6F000 2C000014
	ds_read_b64_tr_b16 a[46:47], v20 offset:61696              // 000000007340: DBC6F100 2E000014
	v_mfma_f32_32x32x16_bf16 a[160:175], v[236:239], v[60:63], a[160:175]// 000000007348: D3B780A0 068279EC
	.long 0x7fc0b3e2                                           // 000000007350: 7FC0B3E2
	.long 0x7fc2b3e3                                           // 000000007354: 7FC2B3E3
	s_waitcnt lgkmcnt(8)                                       // 000000007358: BF8CC87F
	s_barrier                                                  // 00000000735C: BF8A0000
	v_mfma_f32_32x32x16_bf16 a[176:191], v[240:243], v[60:63], a[176:191]// 000000007360: D3B780B0 06C279F0
	ds_read_b64_tr_b16 v[36:37], v14 offset:30720              // 000000007368: D9C67800 2400000E
	ds_read_b64_tr_b16 v[38:39], v14 offset:30752              // 000000007370: D9C67820 2600000E
	ds_read_b64_tr_b16 v[40:41], v14 offset:31872              // 000000007378: D9C67C80 2800000E
	ds_read_b64_tr_b16 v[42:43], v14 offset:31904              // 000000007380: D9C67CA0 2A00000E
	ds_read_b64_tr_b16 v[44:45], v14 offset:33024              // 000000007388: D9C68100 2C00000E
	ds_read_b64_tr_b16 v[46:47], v14 offset:33056              // 000000007390: D9C68120 2E00000E
	v_mfma_f32_32x32x16_bf16 a[192:207], v[244:247], v[60:63], a[192:207]// 000000007398: D3B780C0 070279F4
	.long 0x7fc8b3e6                                           // 0000000073A0: 7FC8B3E6
	.long 0x7fcab3e7                                           // 0000000073A4: 7FCAB3E7
	v_mov_b32_dpp v107, v104 quad_perm:[3,3,3,3] row_mask:0xf bank_mask:0xf// 0000000073A8: 7ED602FA FF00FF68
	v_mov_b32_dpp v106, v104 quad_perm:[2,2,2,2] row_mask:0xf bank_mask:0xf// 0000000073B0: 7ED402FA FF00AA68
	v_mfma_f32_16x16x16_bf16 a[208:211], v[224:225], v[64:65], a[208:211]// 0000000073B8: D3E180D0 074281E0
	ds_read_b64_tr_b16 v[48:49], v14 offset:34176              // 0000000073C0: D9C68580 3000000E
	ds_read_b64_tr_b16 v[50:51], v14 offset:34208              // 0000000073C8: D9C685A0 3200000E
	ds_read_b64_tr_b16 v[52:53], v14 offset:35328              // 0000000073D0: D9C68A00 3400000E
	v_mfma_f32_16x16x16_bf16 a[212:215], v[226:227], v[64:65], a[212:215]// 0000000073D8: D3E180D4 075281E2
	.long 0x7fd0b3ea                                           // 0000000073E0: 7FD0B3EA
	.long 0x7fd2b3eb                                           // 0000000073E4: 7FD2B3EB
	v_mfma_f32_16x16x16_bf16 a[216:219], v[228:229], v[64:65], a[216:219]// 0000000073E8: D3E180D8 076281E4
	ds_read_b64_tr_b16 v[54:55], v14 offset:35360              // 0000000073F0: D9C68A20 3600000E
	ds_read_b64_tr_b16 v[56:57], v14 offset:36480              // 0000000073F8: D9C68E80 3800000E
	ds_read_b64_tr_b16 v[58:59], v14 offset:36512              // 000000007400: D9C68EA0 3A00000E
	v_mfma_f32_16x16x16_bf16 a[220:223], v[230:231], v[64:65], a[220:223]// 000000007408: D3E180DC 077281E6
	v_permlane16_swap_b32_e32 v236, v238                       // 000000007410: 7FD8B3EE
	v_permlane16_swap_b32_e32 v237, v239                       // 000000007414: 7FDAB3EF
	v_mfma_f32_16x16x16_bf16 a[224:227], v[232:233], v[64:65], a[224:227]// 000000007418: D3E180E0 078281E8
	ds_read_b64_tr_b16 a[48:49], v21                           // 000000007420: DBC60000 30000015
	ds_read_b64_tr_b16 a[50:51], v21 offset:256                // 000000007428: DBC60100 32000015
	ds_read_b64_tr_b16 a[52:53], v21 offset:12288              // 000000007430: DBC63000 34000015
	v_mfma_f32_16x16x16_bf16 a[228:231], v[234:235], v[64:65], a[228:231]// 000000007438: D3E180E4 079281EA
	v_permlane16_swap_b32_e32 v240, v242                       // 000000007440: 7FE0B3F2
	v_permlane16_swap_b32_e32 v241, v243                       // 000000007444: 7FE2B3F3
	v_mfma_f32_16x16x16_bf16 a[232:235], v[236:237], v[64:65], a[232:235]// 000000007448: D3E180E8 07A281EC
	ds_read_b64_tr_b16 a[54:55], v21 offset:12544              // 000000007450: DBC63100 36000015
	ds_read_b64_tr_b16 a[56:57], v21 offset:24576              // 000000007458: DBC66000 38000015
	ds_read_b64_tr_b16 a[58:59], v21 offset:24832              // 000000007460: DBC66100 3A000015
	v_mfma_f32_16x16x16_bf16 a[236:239], v[238:239], v[64:65], a[236:239]// 000000007468: D3E180EC 07B281EE
	v_permlane16_swap_b32_e32 v244, v246                       // 000000007470: 7FE8B3F6
	v_permlane16_swap_b32_e32 v245, v247                       // 000000007474: 7FEAB3F7
	v_mfma_f32_16x16x16_bf16 a[240:243], v[240:241], v[64:65], a[240:243]// 000000007478: D3E180F0 07C281F0
	ds_read_b64_tr_b16 a[60:61], v21 offset:36864              // 000000007480: DBC69000 3C000015
	ds_read_b64_tr_b16 a[62:63], v21 offset:37120              // 000000007488: DBC69100 3E000015
	ds_read_b64_tr_b16 v[248:249], v21 offset:49152            // 000000007490: D9C6C000 F8000015
	v_mfma_f32_16x16x16_bf16 a[244:247], v[242:243], v[64:65], a[244:247]// 000000007498: D3E180F4 07D281F2
	v_mov_b32_dpp v105, v104 quad_perm:[1,1,1,1] row_mask:0xf bank_mask:0xf// 0000000074A0: 7ED202FA FF005568
	buffer_atomic_pk_add_bf16 v113, v9, s[32:35], 0 offen offset:768// 0000000074A8: E1481300 80087109
	v_mfma_f32_16x16x16_bf16 a[248:251], v[244:245], v[64:65], a[248:251]// 0000000074B0: D3E180F8 07E281F4
	ds_read_b64_tr_b16 v[250:251], v21 offset:49408            // 0000000074B8: D9C6C100 FA000015
	ds_read_b64_tr_b16 v[252:253], v21 offset:61440            // 0000000074C0: D9C6F000 FC000015
	ds_read_b64_tr_b16 v[254:255], v21 offset:61696            // 0000000074C8: D9C6F100 FE000015
	v_mfma_f32_16x16x16_bf16 a[252:255], v[246:247], v[64:65], a[252:255]// 0000000074D0: D3E180FC 07F281F6
	v_mov_b32_dpp v104, v104 quad_perm:[0,0,0,0] row_mask:0xf bank_mask:0xf// 0000000074D8: 7ED002FA FF000068
	s_waitcnt vmcnt(6) lgkmcnt(6)                              // 0000000074E0: BF8C0676
	s_barrier                                                  // 0000000074E4: BF8A0000
	v_mfma_f32_16x16x32_bf16 v[108:111], a[0:3], v[36:39], 0   // 0000000074E8: D3B5006C 0A024900
	ds_read_b128 v[224:227], v12                               // 0000000074F0: D9FE0000 E000000C
	ds_read_b128 v[228:231], v12 offset:1024                   // 0000000074F8: D9FE0400 E400000C
	v_mfma_f32_16x16x32_bf16 v[108:111], a[4:7], v[40:43], v[108:111]// 000000007500: D3B5006C 0DB25104
	s_mov_b32 m0, s83                                          // 000000007508: BEFC0053
	buffer_load_dwordx4 v1, s[8:11], 0 idxen lds               // 00000000750C: E05D2000 80020001
	v_mfma_f32_16x16x32_bf16 v[108:111], a[8:11], v[44:47], v[108:111]// 000000007514: D3B5006C 0DB25908
	ds_read_b128 v[232:235], v12 offset:2048                   // 00000000751C: D9FE0800 E800000C
	ds_read_b128 v[236:239], v12 offset:3072                   // 000000007524: D9FE0C00 EC00000C
	v_mfma_f32_16x16x32_bf16 v[108:111], a[12:15], v[48:51], v[108:111]// 00000000752C: D3B5006C 0DB2610C
	s_mov_b32 m0, s84                                          // 000000007534: BEFC0054
	buffer_load_dword v2, s[8:11], 0 idxen lds                 // 000000007538: E0512000 80020002
	v_mfma_f32_16x16x32_bf16 v[108:111], a[16:19], v[52:55], v[108:111]// 000000007540: D3B5006C 0DB26910
	ds_read_b128 v[240:243], v12 offset:4096                   // 000000007548: D9FE1000 F000000C
	ds_read_b128 v[244:247], v12 offset:5120                   // 000000007550: D9FE1400 F400000C
	v_mfma_f32_16x16x32_bf16 v[108:111], a[20:23], v[56:59], v[108:111]// 000000007558: D3B5006C 0DB27114
	s_mov_b32 m0, s85                                          // 000000007560: BEFC0055
	buffer_load_dword v3, s[8:11], 0 idxen lds                 // 000000007564: E0512000 80020003
	v_mfma_f32_16x16x32_bf16 v[112:115], a[24:27], v[36:39], 0 // 00000000756C: D3B50070 0A024918
	ds_read_b128 a[0:3], v17                                   // 000000007574: DBFE0000 00000011
	ds_read_b128 a[4:7], v17 offset:1024                       // 00000000757C: DBFE0400 04000011
	v_mfma_f32_16x16x32_bf16 v[112:115], a[28:31], v[40:43], v[112:115]// 000000007584: D3B50070 0DC2511C
	s_mov_b32 m0, s88                                          // 00000000758C: BEFC0058
	buffer_load_dwordx4 v4, s[20:23], 0 idxen lds              // 000000007590: E05D2000 80050004
	v_mfma_f32_16x16x32_bf16 v[112:115], a[32:35], v[44:47], v[112:115]// 000000007598: D3B50070 0DC25920
	ds_read_b128 a[8:11], v17 offset:2048                      // 0000000075A0: DBFE0800 08000011
	ds_read_b128 a[12:15], v17 offset:3072                     // 0000000075A8: DBFE0C00 0C000011
	v_mfma_f32_16x16x32_bf16 v[112:115], a[36:39], v[48:51], v[112:115]// 0000000075B0: D3B50070 0DC26124
	v_mul_f32_e32 v108, s47, v108                              // 0000000075B8: 0AD8D82F
	v_mul_f32_e32 v109, s47, v109                              // 0000000075BC: 0ADADA2F
	s_mov_b32 m0, s76                                          // 0000000075C0: BEFC004C
	buffer_load_dword v11, s[24:27], 0 idxen lds               // 0000000075C4: E0512000 8006000B
	v_mfma_f32_16x16x32_bf16 v[112:115], a[40:43], v[52:55], v[112:115]// 0000000075CC: D3B50070 0DC26928
	ds_read_b128 a[16:19], v17 offset:4096                     // 0000000075D4: DBFE1000 10000011
	ds_read_b128 a[20:23], v17 offset:5120                     // 0000000075DC: DBFE1400 14000011
	v_mfma_f32_16x16x32_bf16 v[112:115], a[44:47], v[56:59], v[112:115]// 0000000075E4: D3B50070 0DC2712C
	s_add_u32 s60, 64, s59                                     // 0000000075EC: 803C3BC0
	s_cmp_lt_u32 s60, s58                                      // 0000000075F0: BF0A3A3C
	s_cselect_b32 s68, s68, 0                                  // 0000000075F4: 85448044
	s_cselect_b32 s97, s97, 0                                  // 0000000075F8: 85618061
	s_cselect_b32 s69, s69, 0                                  // 0000000075FC: 85458045
	v_mfma_f32_16x16x32_bf16 v[116:119], a[48:51], v[36:39], 0 // 000000007600: D3B50074 0A024930
	ds_read_b128 a[24:27], v17 offset:24576                    // 000000007608: DBFE6000 18000011
	ds_read_b128 a[28:31], v17 offset:25600                    // 000000007610: DBFE6400 1C000011
	v_mfma_f32_16x16x32_bf16 v[116:119], a[52:55], v[40:43], v[116:119]// 000000007618: D3B50074 0DD25134
	v_add_u32_e32 v1, s68, v1                                  // 000000007620: 68020244
	v_add_u32_e32 v2, s68, v2                                  // 000000007624: 68040444
	;; [unrolled: 1-line block ×3, first 2 shown]
	v_add_u32_e32 v4, s97, v4                                  // 00000000762C: 68080861
	v_add_u32_e32 v11, s69, v11                                // 000000007630: 68161645
	s_waitcnt lgkmcnt(14)                                      // 000000007634: BF8CCE7F
	v_mfma_f32_16x16x32_bf16 v[116:119], a[56:59], v[44:47], v[116:119]// 000000007638: D3B50074 0DD25938
	ds_read_b128 a[32:35], v17 offset:26624                    // 000000007640: DBFE6800 20000011
	ds_read_b128 a[36:39], v17 offset:27648                    // 000000007648: DBFE6C00 24000011
	v_mfma_f32_16x16x32_bf16 v[116:119], a[60:63], v[48:51], v[116:119]// 000000007650: D3B50074 0DD2613C
	v_mul_f32_e32 v110, s47, v110                              // 000000007658: 0ADCDC2F
	v_mul_f32_e32 v111, s47, v111                              // 00000000765C: 0ADEDE2F
	s_cmp_ge_u32 s59, 16                                       // 000000007660: BF09903B
	s_cselect_b32 s66, s67, s66                                // 000000007664: 85424243
	v_mfma_f32_16x16x32_bf16 v[116:119], v[248:251], v[52:55], v[116:119]// 000000007668: D3B50074 05D269F8
	ds_read_b128 a[40:43], v17 offset:28672                    // 000000007670: DBFE7000 28000011
	ds_read_b128 a[44:47], v17 offset:29696                    // 000000007678: DBFE7400 2C000011
	v_mfma_f32_16x16x32_bf16 v[116:119], v[252:255], v[56:59], v[116:119]// 000000007680: D3B50074 05D271FC
	s_addk_i32 s59, 0x10                                       // 000000007688: B73B0010
	v_mul_f32_e32 v112, s47, v112                              // 00000000768C: 0AE0E02F
	v_mul_f32_e32 v113, s47, v113                              // 000000007690: 0AE2E22F
	s_cmp_lt_i32 s59, s58                                      // 000000007694: BF043A3B
	s_cbranch_scc0 label_0DB7                                  // 000000007698: BF840001
	s_branch label_060C                                        // 00000000769C: BF82F864

00000000000076a0 <label_0DB7>:
	s_nop 0                                                    // 0000000076A0: BF800000
	s_nop 0                                                    // 0000000076A4: BF800000
	s_branch label_1565                                        // 0000000076A8: BF82079C

00000000000076ac <label_0DBA>:
	s_waitcnt lgkmcnt(2)                                       // 0000000076AC: BF8CC27F
	v_mfma_f32_16x16x32_bf16 v[36:39], v[224:227], a[0:3], 0   // 0000000076B0: D3B50024 120201E0
	v_add_u32_e32 v7, s66, v7                                  // 0000000076B8: 680E0E42
	v_add_u32_e32 v8, s66, v8                                  // 0000000076BC: 68101042
	v_add_u32_e32 v9, s66, v9                                  // 0000000076C0: 68121242
	v_mfma_f32_16x16x32_bf16 v[36:39], v[228:231], a[4:7], v[36:39]// 0000000076C4: D3B50024 149209E4
	ds_read_b128 a[48:51], v17 offset:49152                    // 0000000076CC: DBFEC000 30000011
	ds_read_b128 a[52:55], v17 offset:50176                    // 0000000076D4: DBFEC400 34000011
	v_mfma_f32_16x16x32_bf16 v[36:39], v[232:235], a[8:11], v[36:39]// 0000000076DC: D3B50024 149211E8
	v_cvt_pk_bf16_f32 v108, v108, v109                         // 0000000076E4: D268006C 0002DB6C
	v_cvt_pk_bf16_f32 v109, v110, v111                         // 0000000076EC: D268006D 0002DF6E
	v_mfma_f32_16x16x32_bf16 v[36:39], v[236:239], a[12:15], v[36:39]// 0000000076F4: D3B50024 149219EC
	ds_read_b128 a[56:59], v17 offset:51200                    // 0000000076FC: DBFEC800 38000011
	ds_read_b128 a[60:63], v17 offset:52224                    // 000000007704: DBFECC00 3C000011
	v_mfma_f32_16x16x32_bf16 v[36:39], v[240:243], a[16:19], v[36:39]// 00000000770C: D3B50024 149221F0
	v_mul_f32_e32 v114, s47, v114                              // 000000007714: 0AE4E42F
	v_mul_f32_e32 v115, s47, v115                              // 000000007718: 0AE6E62F
	v_mfma_f32_16x16x32_bf16 v[36:39], v[244:247], a[20:23], v[36:39]// 00000000771C: D3B50024 149229F4
	ds_read_b128 v[248:251], v17 offset:53248                  // 000000007724: D9FED000 F8000011
	ds_read_b128 v[252:255], v17 offset:54272                  // 00000000772C: D9FED400 FC000011
	v_mfma_f32_16x16x32_bf16 v[40:43], v[224:227], a[24:27], 0 // 000000007734: D3B50028 120231E0
	v_mul_f32_e32 v116, s47, v116                              // 00000000773C: 0AE8E82F
	v_mul_f32_e32 v117, s47, v117                              // 000000007740: 0AEAEA2F
	v_mfma_f32_16x16x32_bf16 v[40:43], v[228:231], a[28:31], v[40:43]// 000000007744: D3B50028 14A239E4
	ds_read_b128 v[72:75], v12 offset:18432                    // 00000000774C: D9FE4800 4800000C
	ds_read_b128 v[76:79], v12 offset:19456                    // 000000007754: D9FE4C00 4C00000C
	v_mfma_f32_16x16x32_bf16 v[40:43], v[232:235], a[32:35], v[40:43]// 00000000775C: D3B50028 14A241E8
	v_mul_f32_e32 v118, s47, v118                              // 000000007764: 0AECEC2F
	v_mul_f32_e32 v119, s47, v119                              // 000000007768: 0AEEEE2F
	v_cvt_pk_bf16_f32 v110, v112, v113                         // 00000000776C: D268006E 0002E370
	v_cvt_pk_bf16_f32 v111, v114, v115                         // 000000007774: D268006F 0002E772
	v_mfma_f32_16x16x32_bf16 v[40:43], v[236:239], a[36:39], v[40:43]// 00000000777C: D3B50028 14A249EC
	ds_read_b128 v[80:83], v12 offset:20480                    // 000000007784: D9FE5000 5000000C
	ds_read_b128 v[84:87], v12 offset:21504                    // 00000000778C: D9FE5400 5400000C
	s_waitcnt lgkmcnt(10)                                      // 000000007794: BF8CCA7F
	v_mfma_f32_16x16x32_bf16 v[40:43], v[240:243], a[40:43], v[40:43]// 000000007798: D3B50028 14A251F0
	v_fma_f32 v36, v36, s57, -v104                             // 0000000077A0: D1CB0024 85A07324
	v_fma_f32 v37, v37, s57, -v105                             // 0000000077A8: D1CB0025 85A47325
	v_mfma_f32_16x16x32_bf16 v[40:43], v[244:247], a[44:47], v[40:43]// 0000000077B0: D3B50028 14A259F4
	ds_read_b64_tr_b16 v[88:89], v13 offset:18432              // 0000000077B8: D9C64800 5800000D
	ds_read_b64_tr_b16 v[90:91], v13 offset:18688              // 0000000077C0: D9C64900 5A00000D
	s_waitcnt lgkmcnt(10)                                      // 0000000077C8: BF8CCA7F
	v_mfma_f32_16x16x32_bf16 v[44:47], v[224:227], a[48:51], 0 // 0000000077CC: D3B5002C 120261E0
	v_fma_f32 v38, v38, s57, -v106                             // 0000000077D4: D1CB0026 85A87326
	v_fma_f32 v39, v39, s57, -v107                             // 0000000077DC: D1CB0027 85AC7327
	v_mfma_f32_16x16x32_bf16 v[44:47], v[228:231], a[52:55], v[44:47]// 0000000077E4: D3B5002C 14B269E4
	ds_read_b64_tr_b16 v[92:93], v13 offset:19456              // 0000000077EC: D9C64C00 5C00000D
	ds_read_b64_tr_b16 v[94:95], v13 offset:19712              // 0000000077F4: D9C64D00 5E00000D
	s_waitcnt lgkmcnt(10)                                      // 0000000077FC: BF8CCA7F
	v_mfma_f32_16x16x32_bf16 v[44:47], v[232:235], a[56:59], v[44:47]// 000000007800: D3B5002C 14B271E8
	v_fma_f32 v40, v40, s57, -v104                             // 000000007808: D1CB0028 85A07328
	v_fma_f32 v41, v41, s57, -v105                             // 000000007810: D1CB0029 85A47329
	v_cvt_pk_bf16_f32 v112, v116, v117                         // 000000007818: D2680070 0002EB74
	v_cvt_pk_bf16_f32 v113, v118, v119                         // 000000007820: D2680071 0002EF76
	v_mfma_f32_16x16x32_bf16 v[44:47], v[236:239], a[60:63], v[44:47]// 000000007828: D3B5002C 14B279EC
	ds_read_b64_tr_b16 v[96:97], v13 offset:20480              // 000000007830: D9C65000 6000000D
	ds_read_b64_tr_b16 v[98:99], v13 offset:20736              // 000000007838: D9C65100 6200000D
	s_waitcnt lgkmcnt(10)                                      // 000000007840: BF8CCA7F
	v_mfma_f32_16x16x32_bf16 v[44:47], v[240:243], v[248:251], v[44:47]// 000000007844: D3B5002C 04B3F1F0
	v_fma_f32 v42, v42, s57, -v106                             // 00000000784C: D1CB002A 85A8732A
	v_fma_f32 v43, v43, s57, -v107                             // 000000007854: D1CB002B 85AC732B
	v_mfma_f32_16x16x32_bf16 v[44:47], v[244:247], v[252:255], v[44:47]// 00000000785C: D3B5002C 04B3F9F4
	ds_read_b64_tr_b16 v[100:101], v13 offset:21504            // 000000007864: D9C65400 6400000D
	ds_read_b64_tr_b16 v[102:103], v13 offset:21760            // 00000000786C: D9C65500 6600000D
	s_cmp_lt_i32 s98, 0xc0                                     // 000000007874: BF04FF62 000000C0
	s_cbranch_scc0 label_0E81                                  // 00000000787C: BF84004D
	s_cmp_le_i32 s98, 64                                       // 000000007880: BF05C062
	s_cbranch_scc1 label_0E38                                  // 000000007884: BF850007
	s_cmp_le_i32 s98, 0x80                                     // 000000007888: BF05FF62 00000080
	s_cbranch_scc1 label_0E50                                  // 000000007890: BF850017
	s_cmp_lt_i32 s98, 0xc0                                     // 000000007894: BF04FF62 000000C0
	s_cbranch_scc1 label_0E68                                  // 00000000789C: BF85002C
	s_branch label_0E81                                        // 0000000078A0: BF820044

00000000000078a4 <label_0E38>:
	s_mov_b32 s60, 0                                           // 0000000078A4: BEBC0080
	v_and_b32_e32 v32, 15, v0                                  // 0000000078A8: 2640008F
	v_add_u32_e64 v32, v32, s60                                // 0000000078AC: D1340020 00007920
	v_mul_i32_i24_e64 v33, s46, 16                             // 0000000078B4: D1060021 0001202E
	v_add_u32_e32 v32, v32, v33                                // 0000000078BC: 68404320
	v_cmp_lt_u32_e64 s[60:61], v32, s98                        // 0000000078C0: D0C9003C 0000C520
	s_nop 1                                                    // 0000000078C8: BF800001
	v_cndmask_b32_e64 v36, v127, v36, s[60:61]                 // 0000000078CC: D1000024 00F2497F
	v_cndmask_b32_e64 v37, v127, v37, s[60:61]                 // 0000000078D4: D1000025 00F24B7F
	v_cndmask_b32_e64 v38, v127, v38, s[60:61]                 // 0000000078DC: D1000026 00F24D7F
	v_cndmask_b32_e64 v39, v127, v39, s[60:61]                 // 0000000078E4: D1000027 00F24F7F
	s_branch label_0E63                                        // 0000000078EC: BF820013

00000000000078f0 <label_0E50>:
	s_mov_b32 s60, 64                                          // 0000000078F0: BEBC00C0
	v_and_b32_e32 v32, 15, v0                                  // 0000000078F4: 2640008F
	v_add_u32_e64 v32, v32, s60                                // 0000000078F8: D1340020 00007920
	v_mul_i32_i24_e64 v33, s46, 16                             // 000000007900: D1060021 0001202E
	v_add_u32_e32 v32, v32, v33                                // 000000007908: 68404320
	v_cmp_lt_u32_e64 s[60:61], v32, s98                        // 00000000790C: D0C9003C 0000C520
	s_nop 1                                                    // 000000007914: BF800001
	v_cndmask_b32_e64 v40, v127, v40, s[60:61]                 // 000000007918: D1000028 00F2517F
	v_cndmask_b32_e64 v41, v127, v41, s[60:61]                 // 000000007920: D1000029 00F2537F
	v_cndmask_b32_e64 v42, v127, v42, s[60:61]                 // 000000007928: D100002A 00F2557F
	v_cndmask_b32_e64 v43, v127, v43, s[60:61]                 // 000000007930: D100002B 00F2577F
	s_branch label_0E7C                                        // 000000007938: BF820019

000000000000793c <label_0E63>:
	v_mov_b32_e32 v40, v127                                    // 00000000793C: 7E50037F
	v_mov_b32_e32 v41, v127                                    // 000000007940: 7E52037F
	v_mov_b32_e32 v42, v127                                    // 000000007944: 7E54037F
	v_mov_b32_e32 v43, v127                                    // 000000007948: 7E56037F
	s_branch label_0E7C                                        // 00000000794C: BF820014

0000000000007950 <label_0E68>:
	s_mov_b32 s60, 0x80                                        // 000000007950: BEBC00FF 00000080
	v_and_b32_e32 v32, 15, v0                                  // 000000007958: 2640008F
	v_add_u32_e64 v32, v32, s60                                // 00000000795C: D1340020 00007920
	v_mul_i32_i24_e64 v33, s46, 16                             // 000000007964: D1060021 0001202E
	v_add_u32_e32 v32, v32, v33                                // 00000000796C: 68404320
	v_cmp_lt_u32_e64 s[60:61], v32, s98                        // 000000007970: D0C9003C 0000C520
	s_nop 1                                                    // 000000007978: BF800001
	v_cndmask_b32_e64 v44, v127, v44, s[60:61]                 // 00000000797C: D100002C 00F2597F
	v_cndmask_b32_e64 v45, v127, v45, s[60:61]                 // 000000007984: D100002D 00F25B7F
	v_cndmask_b32_e64 v46, v127, v46, s[60:61]                 // 00000000798C: D100002E 00F25D7F
	v_cndmask_b32_e64 v47, v127, v47, s[60:61]                 // 000000007994: D100002F 00F25F7F
	s_branch label_0E81                                        // 00000000799C: BF820005

00000000000079a0 <label_0E7C>:
	v_mov_b32_e32 v44, v127                                    // 0000000079A0: 7E58037F
	v_mov_b32_e32 v45, v127                                    // 0000000079A4: 7E5A037F
	v_mov_b32_e32 v46, v127                                    // 0000000079A8: 7E5C037F
	v_mov_b32_e32 v47, v127                                    // 0000000079AC: 7E5E037F
	s_branch label_0E81                                        // 0000000079B0: BF820000

00000000000079b4 <label_0E81>:
	s_waitcnt lgkmcnt(8)                                       // 0000000079B4: BF8CC87F
	v_mfma_f32_16x16x32_bf16 v[60:63], v[72:75], a[64:67], 0   // 0000000079B8: D3B5003C 12028148
	v_exp_f32_e32 v36, v36                                     // 0000000079C0: 7E484124
	v_exp_f32_e32 v37, v37                                     // 0000000079C4: 7E4A4125
	v_mfma_f32_16x16x32_bf16 v[60:63], v[76:79], a[68:71], v[60:63]// 0000000079C8: D3B5003C 14F2894C
	v_exp_f32_e32 v38, v38                                     // 0000000079D0: 7E4C4126
	v_exp_f32_e32 v39, v39                                     // 0000000079D4: 7E4E4127
	v_mfma_f32_16x16x32_bf16 v[60:63], v[80:83], a[72:75], v[60:63]// 0000000079D8: D3B5003C 14F29150
	v_fma_f32 v44, v44, s57, -v104                             // 0000000079E0: D1CB002C 85A0732C
	v_fma_f32 v45, v45, s57, -v105                             // 0000000079E8: D1CB002D 85A4732D
	v_exp_f32_e32 v40, v40                                     // 0000000079F0: 7E504128
	v_exp_f32_e32 v41, v41                                     // 0000000079F4: 7E524129
	buffer_atomic_pk_add_bf16 v108, v7, s[32:35], 0 offen      // 0000000079F8: E1481000 80086C07
	v_mfma_f32_16x16x32_bf16 v[60:63], v[84:87], a[76:79], v[60:63]// 000000007A00: D3B5003C 14F29954
	ds_read_b64_tr_b16 v[224:225], v13                         // 000000007A08: D9C60000 E000000D
	ds_read_b64_tr_b16 v[226:227], v13 offset:256              // 000000007A10: D9C60100 E200000D
	ds_read_b64_tr_b16 v[228:229], v13 offset:1024             // 000000007A18: D9C60400 E400000D
	ds_read_b64_tr_b16 v[230:231], v13 offset:1280             // 000000007A20: D9C60500 E600000D
	v_mfma_f32_16x16x32_bf16 v[64:67], v[72:75], a[80:83], 0   // 000000007A28: D3B50040 1202A148
	v_fma_f32 v46, v46, s57, -v106                             // 000000007A30: D1CB002E 85A8732E
	v_fma_f32 v47, v47, s57, -v107                             // 000000007A38: D1CB002F 85AC732F
	v_exp_f32_e32 v42, v42                                     // 000000007A40: 7E54412A
	v_exp_f32_e32 v43, v43                                     // 000000007A44: 7E56412B
	v_mfma_f32_16x16x32_bf16 v[64:67], v[76:79], a[84:87], v[64:67]// 000000007A48: D3B50040 1502A94C
	ds_read_b64_tr_b16 v[232:233], v13 offset:2048             // 000000007A50: D9C60800 E800000D
	ds_read_b64_tr_b16 v[234:235], v13 offset:2304             // 000000007A58: D9C60900 EA00000D
	ds_read_b64_tr_b16 v[236:237], v13 offset:3072             // 000000007A60: D9C60C00 EC00000D
	ds_read_b64_tr_b16 v[238:239], v13 offset:3328             // 000000007A68: D9C60D00 EE00000D
	v_mfma_f32_16x16x32_bf16 v[64:67], v[80:83], a[88:91], v[64:67]// 000000007A70: D3B50040 1502B150
	v_exp_f32_e32 v44, v44                                     // 000000007A78: 7E58412C
	v_exp_f32_e32 v45, v45                                     // 000000007A7C: 7E5A412D
	v_mfma_f32_16x16x32_bf16 v[64:67], v[84:87], a[92:95], v[64:67]// 000000007A80: D3B50040 1502B954
	v_cvt_pk_bf16_f32 v120, v36, v37                           // 000000007A88: D2680078 00024B24
	v_cvt_pk_bf16_f32 v121, v38, v39                           // 000000007A90: D2680079 00024F26
	v_cvt_pk_bf16_f32 v122, v40, v41                           // 000000007A98: D268007A 00025328
	v_cvt_pk_bf16_f32 v123, v42, v43                           // 000000007AA0: D268007B 0002572A
	v_mfma_f32_16x16x32_bf16 v[68:71], v[72:75], a[96:99], 0   // 000000007AA8: D3B50044 1202C148
	v_exp_f32_e32 v46, v46                                     // 000000007AB0: 7E5C412E
	v_exp_f32_e32 v47, v47                                     // 000000007AB4: 7E5E412F
	v_mfma_f32_16x16x32_bf16 v[68:71], v[76:79], a[100:103], v[68:71]// 000000007AB8: D3B50044 1512C94C
	v_permlane16_swap_b32_e32 v120, v122                       // 000000007AC0: 7EF0B37A
	v_permlane16_swap_b32_e32 v121, v123                       // 000000007AC4: 7EF2B37B
	v_mfma_f32_16x16x32_bf16 v[68:71], v[80:83], a[104:107], v[68:71]// 000000007AC8: D3B50044 1512D150
	v_cvt_pk_bf16_f32 v124, v44, v45                           // 000000007AD0: D268007C 00025B2C
	v_cvt_pk_bf16_f32 v125, v46, v47                           // 000000007AD8: D268007D 00025F2E
	buffer_atomic_pk_add_bf16 v109, v7, s[32:35], 0 offen offset:768// 000000007AE0: E1481300 80086D07
	v_mfma_f32_16x16x32_bf16 v[68:71], v[84:87], a[108:111], v[68:71]// 000000007AE8: D3B50044 1512D954
	ds_read_b64_tr_b16 v[240:241], v13 offset:4096             // 000000007AF0: D9C61000 F000000D
	ds_read_b64_tr_b16 v[242:243], v13 offset:4352             // 000000007AF8: D9C61100 F200000D
	ds_read_b64_tr_b16 v[244:245], v13 offset:5120             // 000000007B00: D9C61400 F400000D
	ds_read_b64_tr_b16 v[246:247], v13 offset:5376             // 000000007B08: D9C61500 F600000D
	s_waitcnt lgkmcnt(12)                                      // 000000007B10: BF8CCC7F
	v_mfma_f32_32x32x16_bf16 v[128:143], v[88:91], v[120:123], v[128:143]// 000000007B14: D3B70080 0602F158
	v_subrev_f32_dpp v60, v126, v60 quad_perm:[0,0,0,0] row_mask:0xf bank_mask:0xf// 000000007B1C: 067878FA FF00007E
	v_subrev_f32_dpp v61, v126, v61 quad_perm:[1,1,1,1] row_mask:0xf bank_mask:0xf// 000000007B24: 067A7AFA FF00557E
	v_subrev_f32_dpp v62, v126, v62 quad_perm:[2,2,2,2] row_mask:0xf bank_mask:0xf// 000000007B2C: 067C7CFA FF00AA7E
	v_subrev_f32_dpp v63, v126, v63 quad_perm:[3,3,3,3] row_mask:0xf bank_mask:0xf// 000000007B34: 067E7EFA FF00FF7E
	v_subrev_f32_dpp v64, v126, v64 quad_perm:[0,0,0,0] row_mask:0xf bank_mask:0xf// 000000007B3C: 068080FA FF00007E
	v_subrev_f32_dpp v65, v126, v65 quad_perm:[1,1,1,1] row_mask:0xf bank_mask:0xf// 000000007B44: 068282FA FF00557E
	v_subrev_f32_dpp v66, v126, v66 quad_perm:[2,2,2,2] row_mask:0xf bank_mask:0xf// 000000007B4C: 068484FA FF00AA7E
	v_subrev_f32_dpp v67, v126, v67 quad_perm:[3,3,3,3] row_mask:0xf bank_mask:0xf// 000000007B54: 068686FA FF00FF7E
	v_mul_f32_e32 v60, v36, v60                                // 000000007B5C: 0A787924
	v_mul_f32_e32 v61, v37, v61                                // 000000007B60: 0A7A7B25
	v_mul_f32_e32 v62, v38, v62                                // 000000007B64: 0A7C7D26
	v_mul_f32_e32 v63, v39, v63                                // 000000007B68: 0A7E7F27
	v_mfma_f32_32x32x16_bf16 v[144:159], v[92:95], v[120:123], v[144:159]// 000000007B6C: D3B70090 0642F15C
	ds_read_b64_tr_b16 a[0:1], v19                             // 000000007B74: DBC60000 00000013
	ds_read_b64_tr_b16 a[2:3], v19 offset:256                  // 000000007B7C: DBC60100 02000013
	ds_read_b64_tr_b16 a[4:5], v19 offset:12288                // 000000007B84: DBC63000 04000013
	ds_read_b64_tr_b16 a[6:7], v19 offset:12544                // 000000007B8C: DBC63100 06000013
	ds_read_b64_tr_b16 a[8:9], v19 offset:24576                // 000000007B94: DBC66000 08000013
	buffer_atomic_pk_add_bf16 v110, v8, s[32:35], 0 offen      // 000000007B9C: E1481000 80086E08
	v_mfma_f32_32x32x16_bf16 v[160:175], v[96:99], v[120:123], v[160:175]// 000000007BA4: D3B700A0 0682F160
	v_mul_f32_e32 v64, v40, v64                                // 000000007BAC: 0A808128
	v_mul_f32_e32 v65, v41, v65                                // 000000007BB0: 0A828329
	v_mul_f32_e32 v66, v42, v66                                // 000000007BB4: 0A84852A
	v_mul_f32_e32 v67, v43, v67                                // 000000007BB8: 0A86872B
	v_permlane16_swap_b32_e32 v88, v90                         // 000000007BBC: 7EB0B35A
	v_permlane16_swap_b32_e32 v89, v91                         // 000000007BC0: 7EB2B35B
	v_cvt_pk_bf16_f32 v60, v60, v61                            // 000000007BC4: D268003C 00027B3C
	v_cvt_pk_bf16_f32 v61, v62, v63                            // 000000007BCC: D268003D 00027F3E
	v_cvt_pk_bf16_f32 v62, v64, v65                            // 000000007BD4: D268003E 00028340
	v_cvt_pk_bf16_f32 v63, v66, v67                            // 000000007BDC: D268003F 00028742
	v_permlane16_swap_b32_e32 v92, v94                         // 000000007BE4: 7EB8B35E
	v_permlane16_swap_b32_e32 v93, v95                         // 000000007BE8: 7EBAB35F
	v_mfma_f32_32x32x16_bf16 v[176:191], v[100:103], v[120:123], v[176:191]// 000000007BEC: D3B700B0 06C2F164
	ds_read_b64_tr_b16 a[10:11], v19 offset:24832              // 000000007BF4: DBC66100 0A000013
	ds_read_b64_tr_b16 a[12:13], v19 offset:36864              // 000000007BFC: DBC69000 0C000013
	ds_read_b64_tr_b16 a[14:15], v19 offset:37120              // 000000007C04: DBC69100 0E000013
	ds_read_b64_tr_b16 a[16:17], v19 offset:49152              // 000000007C0C: DBC6C000 10000013
	ds_read_b64_tr_b16 a[18:19], v19 offset:49408              // 000000007C14: DBC6C100 12000013
	ds_read_b32 v104, v16 offset:38144                         // 000000007C1C: D86C9500 68000010
	v_mfma_f32_16x16x16_bf16 v[192:195], v[88:89], v[124:125], v[192:195]// 000000007C24: D3E100C0 0702F958
	v_permlane16_swap_b32_e32 v96, v98                         // 000000007C2C: 7EC0B362
	v_permlane16_swap_b32_e32 v97, v99                         // 000000007C30: 7EC2B363
	v_subrev_f32_dpp v68, v126, v68 quad_perm:[0,0,0,0] row_mask:0xf bank_mask:0xf// 000000007C34: 068888FA FF00007E
	v_subrev_f32_dpp v69, v126, v69 quad_perm:[1,1,1,1] row_mask:0xf bank_mask:0xf// 000000007C3C: 068A8AFA FF00557E
	v_mfma_f32_16x16x16_bf16 v[196:199], v[90:91], v[124:125], v[196:199]// 000000007C44: D3E100C4 0712F95A
	buffer_atomic_pk_add_bf16 v111, v8, s[32:35], 0 offen offset:768// 000000007C4C: E1481300 80086F08
	ds_write_b64 v15, v[60:61] offset:30720                    // 000000007C54: D89A7800 00003C0F
	ds_write_b64 v15, v[62:63] offset:33024                    // 000000007C5C: D89A8100 00003E0F
	v_mfma_f32_16x16x16_bf16 v[200:203], v[92:93], v[124:125], v[200:203]// 000000007C64: D3E100C8 0722F95C
	v_permlane16_swap_b32_e32 v100, v102                       // 000000007C6C: 7EC8B366
	v_permlane16_swap_b32_e32 v101, v103                       // 000000007C70: 7ECAB367
	v_subrev_f32_dpp v70, v126, v70 quad_perm:[2,2,2,2] row_mask:0xf bank_mask:0xf// 000000007C74: 068C8CFA FF00AA7E
	v_subrev_f32_dpp v71, v126, v71 quad_perm:[3,3,3,3] row_mask:0xf bank_mask:0xf// 000000007C7C: 068E8EFA FF00FF7E
	v_mfma_f32_16x16x16_bf16 v[204:207], v[94:95], v[124:125], v[204:207]// 000000007C84: D3E100CC 0732F95E
	v_permlane16_swap_b32_e32 v60, v62                         // 000000007C8C: 7E78B33E
	v_permlane16_swap_b32_e32 v61, v63                         // 000000007C90: 7E7AB33F
	v_mfma_f32_16x16x16_bf16 v[208:211], v[96:97], v[124:125], v[208:211]// 000000007C94: D3E100D0 0742F960
	v_mul_f32_e32 v68, v44, v68                                // 000000007C9C: 0A88892C
	v_mul_f32_e32 v69, v45, v69                                // 000000007CA0: 0A8A8B2D
	v_mul_f32_e32 v70, v46, v70                                // 000000007CA4: 0A8C8D2E
	v_mfma_f32_16x16x16_bf16 v[212:215], v[98:99], v[124:125], v[212:215]// 000000007CA8: D3E100D4 0752F962
	ds_read_b64_tr_b16 a[20:21], v19 offset:61440              // 000000007CB0: DBC6F000 14000013
	ds_read_b64_tr_b16 a[22:23], v19 offset:61696              // 000000007CB8: DBC6F100 16000013
	ds_read_b64_tr_b16 a[24:25], v20                           // 000000007CC0: DBC60000 18000014
	v_mfma_f32_16x16x16_bf16 v[216:219], v[100:101], v[124:125], v[216:219]// 000000007CC8: D3E100D8 0762F964
	v_mul_f32_e32 v71, v47, v71                                // 000000007CD0: 0A8E8F2F
	v_cvt_pk_bf16_f32 v64, v68, v69                            // 000000007CD4: D2680040 00028B44
	v_cvt_pk_bf16_f32 v65, v70, v71                            // 000000007CDC: D2680041 00028F46
	v_mfma_f32_16x16x16_bf16 v[220:223], v[102:103], v[124:125], v[220:223]// 000000007CE4: D3E100DC 0772F966
	ds_read_b32 v126, v16 offset:38400                         // 000000007CEC: D86C9600 7E000010
	ds_read_b64_tr_b16 a[26:27], v20 offset:256                // 000000007CF4: DBC60100 1A000014
	ds_read_b64_tr_b16 a[28:29], v20 offset:12288              // 000000007CFC: DBC63000 1C000014
	s_waitcnt lgkmcnt(8)                                       // 000000007D04: BF8CC87F
	v_mfma_f32_32x32x16_bf16 a[112:127], v[224:227], v[60:63], a[112:127]// 000000007D08: D3B78070 05C279E0
	v_mul_f32_e32 v104, s48, v104                              // 000000007D10: 0AD0D030
	buffer_atomic_pk_add_bf16 v112, v9, s[32:35], 0 offen      // 000000007D14: E1481000 80087009
	v_mfma_f32_32x32x16_bf16 a[128:143], v[228:231], v[60:63], a[128:143]// 000000007D1C: D3B78080 060279E4
	ds_read_b64_tr_b16 a[30:31], v20 offset:12544              // 000000007D24: DBC63100 1E000014
	ds_write_b64 v15, v[64:65] offset:35328                    // 000000007D2C: D89A8A00 0000400F
	ds_read_b64_tr_b16 a[32:33], v20 offset:24576              // 000000007D34: DBC66000 20000014
	ds_read_b64_tr_b16 a[34:35], v20 offset:24832              // 000000007D3C: DBC66100 22000014
	v_mfma_f32_32x32x16_bf16 a[144:159], v[232:235], v[60:63], a[144:159]// 000000007D44: D3B78090 064279E8
	.long 0x7fc0b3e2                                           // 000000007D4C: 7FC0B3E2
	.long 0x7fc2b3e3                                           // 000000007D50: 7FC2B3E3
	v_mfma_f32_32x32x16_bf16 a[160:175], v[236:239], v[60:63], a[160:175]// 000000007D54: D3B780A0 068279EC
	ds_read_b64_tr_b16 a[36:37], v20 offset:36864              // 000000007D5C: DBC69000 24000014
	ds_read_b64_tr_b16 a[38:39], v20 offset:37120              // 000000007D64: DBC69100 26000014
	ds_read_b64_tr_b16 a[40:41], v20 offset:49152              // 000000007D6C: DBC6C000 28000014
	ds_read_b64_tr_b16 a[42:43], v20 offset:49408              // 000000007D74: DBC6C100 2A000014
	ds_read_b64_tr_b16 a[44:45], v20 offset:61440              // 000000007D7C: DBC6F000 2C000014
	ds_read_b64_tr_b16 a[46:47], v20 offset:61696              // 000000007D84: DBC6F100 2E000014
	s_waitcnt lgkmcnt(8)                                       // 000000007D8C: BF8CC87F
	s_barrier                                                  // 000000007D90: BF8A0000
	v_mfma_f32_32x32x16_bf16 a[176:191], v[240:243], v[60:63], a[176:191]// 000000007D94: D3B780B0 06C279F0
	.long 0x7fc8b3e6                                           // 000000007D9C: 7FC8B3E6
	.long 0x7fcab3e7                                           // 000000007DA0: 7FCAB3E7
	v_mov_b32_dpp v107, v104 quad_perm:[3,3,3,3] row_mask:0xf bank_mask:0xf// 000000007DA4: 7ED602FA FF00FF68
	v_mov_b32_dpp v106, v104 quad_perm:[2,2,2,2] row_mask:0xf bank_mask:0xf// 000000007DAC: 7ED402FA FF00AA68
	v_mfma_f32_32x32x16_bf16 a[192:207], v[244:247], v[60:63], a[192:207]// 000000007DB4: D3B780C0 070279F4
	ds_read_b64_tr_b16 v[36:37], v14 offset:30720              // 000000007DBC: D9C67800 2400000E
	ds_read_b64_tr_b16 v[38:39], v14 offset:30752              // 000000007DC4: D9C67820 2600000E
	ds_read_b64_tr_b16 v[40:41], v14 offset:31872              // 000000007DCC: D9C67C80 2800000E
	ds_read_b64_tr_b16 v[42:43], v14 offset:31904              // 000000007DD4: D9C67CA0 2A00000E
	ds_read_b64_tr_b16 v[44:45], v14 offset:33024              // 000000007DDC: D9C68100 2C00000E
	ds_read_b64_tr_b16 v[46:47], v14 offset:33056              // 000000007DE4: D9C68120 2E00000E
	v_mfma_f32_16x16x16_bf16 a[208:211], v[224:225], v[64:65], a[208:211]// 000000007DEC: D3E180D0 074281E0
	.long 0x7fd0b3ea                                           // 000000007DF4: 7FD0B3EA
	.long 0x7fd2b3eb                                           // 000000007DF8: 7FD2B3EB
	v_mfma_f32_16x16x16_bf16 a[212:215], v[226:227], v[64:65], a[212:215]// 000000007DFC: D3E180D4 075281E2
	ds_read_b64_tr_b16 v[48:49], v14 offset:34176              // 000000007E04: D9C68580 3000000E
	ds_read_b64_tr_b16 v[50:51], v14 offset:34208              // 000000007E0C: D9C685A0 3200000E
	ds_read_b64_tr_b16 v[52:53], v14 offset:35328              // 000000007E14: D9C68A00 3400000E
	v_mfma_f32_16x16x16_bf16 a[216:219], v[228:229], v[64:65], a[216:219]// 000000007E1C: D3E180D8 076281E4
	v_permlane16_swap_b32_e32 v236, v238                       // 000000007E24: 7FD8B3EE
	v_permlane16_swap_b32_e32 v237, v239                       // 000000007E28: 7FDAB3EF
	v_mfma_f32_16x16x16_bf16 a[220:223], v[230:231], v[64:65], a[220:223]// 000000007E2C: D3E180DC 077281E6
	ds_read_b64_tr_b16 v[54:55], v14 offset:35360              // 000000007E34: D9C68A20 3600000E
	ds_read_b64_tr_b16 v[56:57], v14 offset:36480              // 000000007E3C: D9C68E80 3800000E
	ds_read_b64_tr_b16 v[58:59], v14 offset:36512              // 000000007E44: D9C68EA0 3A00000E
	v_mfma_f32_16x16x16_bf16 a[224:227], v[232:233], v[64:65], a[224:227]// 000000007E4C: D3E180E0 078281E8
	v_permlane16_swap_b32_e32 v240, v242                       // 000000007E54: 7FE0B3F2
	v_permlane16_swap_b32_e32 v241, v243                       // 000000007E58: 7FE2B3F3
	v_mfma_f32_16x16x16_bf16 a[228:231], v[234:235], v[64:65], a[228:231]// 000000007E5C: D3E180E4 079281EA
	ds_read_b64_tr_b16 a[48:49], v21                           // 000000007E64: DBC60000 30000015
	ds_read_b64_tr_b16 a[50:51], v21 offset:256                // 000000007E6C: DBC60100 32000015
	ds_read_b64_tr_b16 a[52:53], v21 offset:12288              // 000000007E74: DBC63000 34000015
	v_mfma_f32_16x16x16_bf16 a[232:235], v[236:237], v[64:65], a[232:235]// 000000007E7C: D3E180E8 07A281EC
	v_permlane16_swap_b32_e32 v244, v246                       // 000000007E84: 7FE8B3F6
	v_permlane16_swap_b32_e32 v245, v247                       // 000000007E88: 7FEAB3F7
	v_mfma_f32_16x16x16_bf16 a[236:239], v[238:239], v[64:65], a[236:239]// 000000007E8C: D3E180EC 07B281EE
	ds_read_b64_tr_b16 a[54:55], v21 offset:12544              // 000000007E94: DBC63100 36000015
	ds_read_b64_tr_b16 a[56:57], v21 offset:24576              // 000000007E9C: DBC66000 38000015
	ds_read_b64_tr_b16 a[58:59], v21 offset:24832              // 000000007EA4: DBC66100 3A000015
	v_mfma_f32_16x16x16_bf16 a[240:243], v[240:241], v[64:65], a[240:243]// 000000007EAC: D3E180F0 07C281F0
	v_mov_b32_dpp v105, v104 quad_perm:[1,1,1,1] row_mask:0xf bank_mask:0xf// 000000007EB4: 7ED202FA FF005568
	buffer_atomic_pk_add_bf16 v113, v9, s[32:35], 0 offen offset:768// 000000007EBC: E1481300 80087109
	v_mfma_f32_16x16x16_bf16 a[244:247], v[242:243], v[64:65], a[244:247]// 000000007EC4: D3E180F4 07D281F2
	ds_read_b64_tr_b16 a[60:61], v21 offset:36864              // 000000007ECC: DBC69000 3C000015
	ds_read_b64_tr_b16 a[62:63], v21 offset:37120              // 000000007ED4: DBC69100 3E000015
	ds_read_b64_tr_b16 v[248:249], v21 offset:49152            // 000000007EDC: D9C6C000 F8000015
	v_mfma_f32_16x16x16_bf16 a[248:251], v[244:245], v[64:65], a[248:251]// 000000007EE4: D3E180F8 07E281F4
	v_mov_b32_dpp v104, v104 quad_perm:[0,0,0,0] row_mask:0xf bank_mask:0xf// 000000007EEC: 7ED002FA FF000068
	v_mfma_f32_16x16x16_bf16 a[252:255], v[246:247], v[64:65], a[252:255]// 000000007EF4: D3E180FC 07F281F6
	ds_read_b64_tr_b16 v[250:251], v21 offset:49408            // 000000007EFC: D9C6C100 FA000015
	ds_read_b64_tr_b16 v[252:253], v21 offset:61440            // 000000007F04: D9C6F000 FC000015
	ds_read_b64_tr_b16 v[254:255], v21 offset:61696            // 000000007F0C: D9C6F100 FE000015
	s_waitcnt vmcnt(6) lgkmcnt(6)                              // 000000007F14: BF8C0676
	s_barrier                                                  // 000000007F18: BF8A0000
	v_mfma_f32_16x16x32_bf16 v[108:111], a[0:3], v[36:39], 0   // 000000007F1C: D3B5006C 0A024900
	s_mov_b32 m0, s77                                          // 000000007F24: BEFC004D
	buffer_load_dwordx4 v1, s[8:11], 0 idxen lds               // 000000007F28: E05D2000 80020001
	v_mfma_f32_16x16x32_bf16 v[108:111], a[4:7], v[40:43], v[108:111]// 000000007F30: D3B5006C 0DB25104
	ds_read_b128 v[224:227], v12 offset:6144                   // 000000007F38: D9FE1800 E000000C
	ds_read_b128 v[228:231], v12 offset:7168                   // 000000007F40: D9FE1C00 E400000C
	v_mfma_f32_16x16x32_bf16 v[108:111], a[8:11], v[44:47], v[108:111]// 000000007F48: D3B5006C 0DB25908
	s_mov_b32 m0, s78                                          // 000000007F50: BEFC004E
	buffer_load_dword v2, s[8:11], 0 idxen lds                 // 000000007F54: E0512000 80020002
	v_mfma_f32_16x16x32_bf16 v[108:111], a[12:15], v[48:51], v[108:111]// 000000007F5C: D3B5006C 0DB2610C
	ds_read_b128 v[232:235], v12 offset:8192                   // 000000007F64: D9FE2000 E800000C
	ds_read_b128 v[236:239], v12 offset:9216                   // 000000007F6C: D9FE2400 EC00000C
	v_mfma_f32_16x16x32_bf16 v[108:111], a[16:19], v[52:55], v[108:111]// 000000007F74: D3B5006C 0DB26910
	s_mov_b32 m0, s79                                          // 000000007F7C: BEFC004F
	buffer_load_dword v3, s[8:11], 0 idxen lds                 // 000000007F80: E0512000 80020003
	v_mfma_f32_16x16x32_bf16 v[108:111], a[20:23], v[56:59], v[108:111]// 000000007F88: D3B5006C 0DB27114
	ds_read_b128 v[240:243], v12 offset:10240                  // 000000007F90: D9FE2800 F000000C
	ds_read_b128 v[244:247], v12 offset:11264                  // 000000007F98: D9FE2C00 F400000C
	v_mfma_f32_16x16x32_bf16 v[112:115], a[24:27], v[36:39], 0 // 000000007FA0: D3B50070 0A024918
	s_mov_b32 m0, s86                                          // 000000007FA8: BEFC0056
	buffer_load_dwordx4 v4, s[20:23], 0 idxen lds              // 000000007FAC: E05D2000 80050004
	v_mfma_f32_16x16x32_bf16 v[112:115], a[28:31], v[40:43], v[112:115]// 000000007FB4: D3B50070 0DC2511C
	ds_read_b128 a[0:3], v17                                   // 000000007FBC: DBFE0000 00000011
	ds_read_b128 a[4:7], v17 offset:1024                       // 000000007FC4: DBFE0400 04000011
	v_mfma_f32_16x16x32_bf16 v[112:115], a[32:35], v[44:47], v[112:115]// 000000007FCC: D3B50070 0DC25920
	v_mul_f32_e32 v108, s47, v108                              // 000000007FD4: 0AD8D82F
	v_mul_f32_e32 v109, s47, v109                              // 000000007FD8: 0ADADA2F
	s_mov_b32 m0, s74                                          // 000000007FDC: BEFC004A
	buffer_load_dword v11, s[24:27], 0 idxen lds               // 000000007FE0: E0512000 8006000B
	v_mfma_f32_16x16x32_bf16 v[112:115], a[36:39], v[48:51], v[112:115]// 000000007FE8: D3B50070 0DC26124
	ds_read_b128 a[8:11], v17 offset:2048                      // 000000007FF0: DBFE0800 08000011
	ds_read_b128 a[12:15], v17 offset:3072                     // 000000007FF8: DBFE0C00 0C000011
	v_mfma_f32_16x16x32_bf16 v[112:115], a[40:43], v[52:55], v[112:115]// 000000008000: D3B50070 0DC26928
	s_add_u32 s60, 64, s59                                     // 000000008008: 803C3BC0
	s_cmp_lt_u32 s60, s58                                      // 00000000800C: BF0A3A3C
	s_cselect_b32 s68, s68, 0                                  // 000000008010: 85448044
	s_cselect_b32 s97, s97, 0                                  // 000000008014: 85618061
	;; [unrolled: 1-line block ×3, first 2 shown]
	v_mfma_f32_16x16x32_bf16 v[112:115], a[44:47], v[56:59], v[112:115]// 00000000801C: D3B50070 0DC2712C
	ds_read_b128 a[16:19], v17 offset:4096                     // 000000008024: DBFE1000 10000011
	ds_read_b128 a[20:23], v17 offset:5120                     // 00000000802C: DBFE1400 14000011
	v_mfma_f32_16x16x32_bf16 v[116:119], a[48:51], v[36:39], 0 // 000000008034: D3B50074 0A024930
	v_add_u32_e32 v1, s68, v1                                  // 00000000803C: 68020244
	v_add_u32_e32 v2, s68, v2                                  // 000000008040: 68040444
	v_add_u32_e32 v3, s68, v3                                  // 000000008044: 68060644
	;; [unrolled: 1-line block ×3, first 2 shown]
	v_add_u32_e32 v11, s69, v11                                // 00000000804C: 68161645
	v_mfma_f32_16x16x32_bf16 v[116:119], a[52:55], v[40:43], v[116:119]// 000000008050: D3B50074 0DD25134
	ds_read_b128 a[24:27], v17 offset:24576                    // 000000008058: DBFE6000 18000011
	ds_read_b128 a[28:31], v17 offset:25600                    // 000000008060: DBFE6400 1C000011
	s_waitcnt lgkmcnt(14)                                      // 000000008068: BF8CCE7F
	v_mfma_f32_16x16x32_bf16 v[116:119], a[56:59], v[44:47], v[116:119]// 00000000806C: D3B50074 0DD25938
	v_mul_f32_e32 v110, s47, v110                              // 000000008074: 0ADCDC2F
	v_mul_f32_e32 v111, s47, v111                              // 000000008078: 0ADEDE2F
	s_cmp_ge_u32 s59, 16                                       // 00000000807C: BF09903B
	s_cselect_b32 s66, s67, s66                                // 000000008080: 85424243
	v_mfma_f32_16x16x32_bf16 v[116:119], a[60:63], v[48:51], v[116:119]// 000000008084: D3B50074 0DD2613C
	ds_read_b128 a[32:35], v17 offset:26624                    // 00000000808C: DBFE6800 20000011
	ds_read_b128 a[36:39], v17 offset:27648                    // 000000008094: DBFE6C00 24000011
	v_mfma_f32_16x16x32_bf16 v[116:119], v[248:251], v[52:55], v[116:119]// 00000000809C: D3B50074 05D269F8
	s_addk_i32 s59, 0x10                                       // 0000000080A4: B73B0010
	v_mul_f32_e32 v112, s47, v112                              // 0000000080A8: 0AE0E02F
	v_mul_f32_e32 v113, s47, v113                              // 0000000080AC: 0AE2E22F
	s_cmp_lt_i32 s59, s58                                      // 0000000080B0: BF043A3B
	v_mfma_f32_16x16x32_bf16 v[116:119], v[252:255], v[56:59], v[116:119]// 0000000080B4: D3B50074 05D271FC
	ds_read_b128 a[40:43], v17 offset:28672                    // 0000000080BC: DBFE7000 28000011
	ds_read_b128 a[44:47], v17 offset:29696                    // 0000000080C4: DBFE7400 2C000011
	s_cbranch_scc0 label_0DB7                                  // 0000000080CC: BF84FD74
	s_waitcnt lgkmcnt(2)                                       // 0000000080D0: BF8CC27F
	v_mfma_f32_16x16x32_bf16 v[36:39], v[224:227], a[0:3], 0   // 0000000080D4: D3B50024 120201E0
	v_add_u32_e32 v7, s66, v7                                  // 0000000080DC: 680E0E42
	v_add_u32_e32 v8, s66, v8                                  // 0000000080E0: 68101042
	v_add_u32_e32 v9, s66, v9                                  // 0000000080E4: 68121242
	v_mfma_f32_16x16x32_bf16 v[36:39], v[228:231], a[4:7], v[36:39]// 0000000080E8: D3B50024 149209E4
	ds_read_b128 a[48:51], v17 offset:49152                    // 0000000080F0: DBFEC000 30000011
	ds_read_b128 a[52:55], v17 offset:50176                    // 0000000080F8: DBFEC400 34000011
	v_mfma_f32_16x16x32_bf16 v[36:39], v[232:235], a[8:11], v[36:39]// 000000008100: D3B50024 149211E8
	v_cvt_pk_bf16_f32 v108, v108, v109                         // 000000008108: D268006C 0002DB6C
	v_cvt_pk_bf16_f32 v109, v110, v111                         // 000000008110: D268006D 0002DF6E
	v_mfma_f32_16x16x32_bf16 v[36:39], v[236:239], a[12:15], v[36:39]// 000000008118: D3B50024 149219EC
	ds_read_b128 a[56:59], v17 offset:51200                    // 000000008120: DBFEC800 38000011
	ds_read_b128 a[60:63], v17 offset:52224                    // 000000008128: DBFECC00 3C000011
	v_mfma_f32_16x16x32_bf16 v[36:39], v[240:243], a[16:19], v[36:39]// 000000008130: D3B50024 149221F0
	v_mul_f32_e32 v114, s47, v114                              // 000000008138: 0AE4E42F
	v_mul_f32_e32 v115, s47, v115                              // 00000000813C: 0AE6E62F
	v_mfma_f32_16x16x32_bf16 v[36:39], v[244:247], a[20:23], v[36:39]// 000000008140: D3B50024 149229F4
	ds_read_b128 v[248:251], v17 offset:53248                  // 000000008148: D9FED000 F8000011
	ds_read_b128 v[252:255], v17 offset:54272                  // 000000008150: D9FED400 FC000011
	v_mfma_f32_16x16x32_bf16 v[40:43], v[224:227], a[24:27], 0 // 000000008158: D3B50028 120231E0
	v_mul_f32_e32 v116, s47, v116                              // 000000008160: 0AE8E82F
	v_mul_f32_e32 v117, s47, v117                              // 000000008164: 0AEAEA2F
	v_mfma_f32_16x16x32_bf16 v[40:43], v[228:231], a[28:31], v[40:43]// 000000008168: D3B50028 14A239E4
	ds_read_b128 v[72:75], v12 offset:22528                    // 000000008170: D9FE5800 4800000C
	ds_read_b128 v[76:79], v12 offset:23552                    // 000000008178: D9FE5C00 4C00000C
	v_mfma_f32_16x16x32_bf16 v[40:43], v[232:235], a[32:35], v[40:43]// 000000008180: D3B50028 14A241E8
	v_mul_f32_e32 v118, s47, v118                              // 000000008188: 0AECEC2F
	v_mul_f32_e32 v119, s47, v119                              // 00000000818C: 0AEEEE2F
	v_cvt_pk_bf16_f32 v110, v112, v113                         // 000000008190: D268006E 0002E370
	v_cvt_pk_bf16_f32 v111, v114, v115                         // 000000008198: D268006F 0002E772
	v_mfma_f32_16x16x32_bf16 v[40:43], v[236:239], a[36:39], v[40:43]// 0000000081A0: D3B50028 14A249EC
	ds_read_b128 v[80:83], v12 offset:24576                    // 0000000081A8: D9FE6000 5000000C
	ds_read_b128 v[84:87], v12 offset:25600                    // 0000000081B0: D9FE6400 5400000C
	s_waitcnt lgkmcnt(10)                                      // 0000000081B8: BF8CCA7F
	v_mfma_f32_16x16x32_bf16 v[40:43], v[240:243], a[40:43], v[40:43]// 0000000081BC: D3B50028 14A251F0
	v_fma_f32 v36, v36, s57, -v104                             // 0000000081C4: D1CB0024 85A07324
	v_fma_f32 v37, v37, s57, -v105                             // 0000000081CC: D1CB0025 85A47325
	v_mfma_f32_16x16x32_bf16 v[40:43], v[244:247], a[44:47], v[40:43]// 0000000081D4: D3B50028 14A259F4
	ds_read_b64_tr_b16 v[88:89], v13 offset:22528              // 0000000081DC: D9C65800 5800000D
	ds_read_b64_tr_b16 v[90:91], v13 offset:22784              // 0000000081E4: D9C65900 5A00000D
	s_waitcnt lgkmcnt(10)                                      // 0000000081EC: BF8CCA7F
	v_mfma_f32_16x16x32_bf16 v[44:47], v[224:227], a[48:51], 0 // 0000000081F0: D3B5002C 120261E0
	v_fma_f32 v38, v38, s57, -v106                             // 0000000081F8: D1CB0026 85A87326
	v_fma_f32 v39, v39, s57, -v107                             // 000000008200: D1CB0027 85AC7327
	v_mfma_f32_16x16x32_bf16 v[44:47], v[228:231], a[52:55], v[44:47]// 000000008208: D3B5002C 14B269E4
	ds_read_b64_tr_b16 v[92:93], v13 offset:23552              // 000000008210: D9C65C00 5C00000D
	ds_read_b64_tr_b16 v[94:95], v13 offset:23808              // 000000008218: D9C65D00 5E00000D
	s_waitcnt lgkmcnt(10)                                      // 000000008220: BF8CCA7F
	v_mfma_f32_16x16x32_bf16 v[44:47], v[232:235], a[56:59], v[44:47]// 000000008224: D3B5002C 14B271E8
	v_fma_f32 v40, v40, s57, -v104                             // 00000000822C: D1CB0028 85A07328
	v_fma_f32 v41, v41, s57, -v105                             // 000000008234: D1CB0029 85A47329
	v_cvt_pk_bf16_f32 v112, v116, v117                         // 00000000823C: D2680070 0002EB74
	v_cvt_pk_bf16_f32 v113, v118, v119                         // 000000008244: D2680071 0002EF76
	v_mfma_f32_16x16x32_bf16 v[44:47], v[236:239], a[60:63], v[44:47]// 00000000824C: D3B5002C 14B279EC
	ds_read_b64_tr_b16 v[96:97], v13 offset:24576              // 000000008254: D9C66000 6000000D
	ds_read_b64_tr_b16 v[98:99], v13 offset:24832              // 00000000825C: D9C66100 6200000D
	s_waitcnt lgkmcnt(10)                                      // 000000008264: BF8CCA7F
	v_mfma_f32_16x16x32_bf16 v[44:47], v[240:243], v[248:251], v[44:47]// 000000008268: D3B5002C 04B3F1F0
	v_fma_f32 v42, v42, s57, -v106                             // 000000008270: D1CB002A 85A8732A
	v_fma_f32 v43, v43, s57, -v107                             // 000000008278: D1CB002B 85AC732B
	v_mfma_f32_16x16x32_bf16 v[44:47], v[244:247], v[252:255], v[44:47]// 000000008280: D3B5002C 04B3F9F4
	ds_read_b64_tr_b16 v[100:101], v13 offset:25600            // 000000008288: D9C66400 6400000D
	ds_read_b64_tr_b16 v[102:103], v13 offset:25856            // 000000008290: D9C66500 6600000D
	s_cmp_lt_i32 s98, 0xc0                                     // 000000008298: BF04FF62 000000C0
	s_cbranch_scc0 label_110F                                  // 0000000082A0: BF84004D
	s_cmp_le_i32 s98, 64                                       // 0000000082A4: BF05C062
	s_cbranch_scc1 label_10C6                                  // 0000000082A8: BF850007
	s_cmp_le_i32 s98, 0x80                                     // 0000000082AC: BF05FF62 00000080
	s_cbranch_scc1 label_10DE                                  // 0000000082B4: BF850017
	s_cmp_lt_i32 s98, 0xc0                                     // 0000000082B8: BF04FF62 000000C0
	s_cbranch_scc1 label_10F6                                  // 0000000082C0: BF85002C
	s_branch label_110F                                        // 0000000082C4: BF820044

00000000000082c8 <label_10C6>:
	s_mov_b32 s60, 0                                           // 0000000082C8: BEBC0080
	v_and_b32_e32 v32, 15, v0                                  // 0000000082CC: 2640008F
	v_add_u32_e64 v32, v32, s60                                // 0000000082D0: D1340020 00007920
	v_mul_i32_i24_e64 v33, s46, 16                             // 0000000082D8: D1060021 0001202E
	v_add_u32_e32 v32, v32, v33                                // 0000000082E0: 68404320
	v_cmp_lt_u32_e64 s[60:61], v32, s98                        // 0000000082E4: D0C9003C 0000C520
	s_nop 1                                                    // 0000000082EC: BF800001
	v_cndmask_b32_e64 v36, v127, v36, s[60:61]                 // 0000000082F0: D1000024 00F2497F
	v_cndmask_b32_e64 v37, v127, v37, s[60:61]                 // 0000000082F8: D1000025 00F24B7F
	v_cndmask_b32_e64 v38, v127, v38, s[60:61]                 // 000000008300: D1000026 00F24D7F
	v_cndmask_b32_e64 v39, v127, v39, s[60:61]                 // 000000008308: D1000027 00F24F7F
	s_branch label_10F1                                        // 000000008310: BF820013

0000000000008314 <label_10DE>:
	s_mov_b32 s60, 64                                          // 000000008314: BEBC00C0
	v_and_b32_e32 v32, 15, v0                                  // 000000008318: 2640008F
	v_add_u32_e64 v32, v32, s60                                // 00000000831C: D1340020 00007920
	v_mul_i32_i24_e64 v33, s46, 16                             // 000000008324: D1060021 0001202E
	v_add_u32_e32 v32, v32, v33                                // 00000000832C: 68404320
	v_cmp_lt_u32_e64 s[60:61], v32, s98                        // 000000008330: D0C9003C 0000C520
	s_nop 1                                                    // 000000008338: BF800001
	v_cndmask_b32_e64 v40, v127, v40, s[60:61]                 // 00000000833C: D1000028 00F2517F
	v_cndmask_b32_e64 v41, v127, v41, s[60:61]                 // 000000008344: D1000029 00F2537F
	v_cndmask_b32_e64 v42, v127, v42, s[60:61]                 // 00000000834C: D100002A 00F2557F
	v_cndmask_b32_e64 v43, v127, v43, s[60:61]                 // 000000008354: D100002B 00F2577F
	s_branch label_110A                                        // 00000000835C: BF820019

0000000000008360 <label_10F1>:
	v_mov_b32_e32 v40, v127                                    // 000000008360: 7E50037F
	v_mov_b32_e32 v41, v127                                    // 000000008364: 7E52037F
	v_mov_b32_e32 v42, v127                                    // 000000008368: 7E54037F
	v_mov_b32_e32 v43, v127                                    // 00000000836C: 7E56037F
	s_branch label_110A                                        // 000000008370: BF820014

0000000000008374 <label_10F6>:
	s_mov_b32 s60, 0x80                                        // 000000008374: BEBC00FF 00000080
	v_and_b32_e32 v32, 15, v0                                  // 00000000837C: 2640008F
	v_add_u32_e64 v32, v32, s60                                // 000000008380: D1340020 00007920
	v_mul_i32_i24_e64 v33, s46, 16                             // 000000008388: D1060021 0001202E
	v_add_u32_e32 v32, v32, v33                                // 000000008390: 68404320
	v_cmp_lt_u32_e64 s[60:61], v32, s98                        // 000000008394: D0C9003C 0000C520
	s_nop 1                                                    // 00000000839C: BF800001
	v_cndmask_b32_e64 v44, v127, v44, s[60:61]                 // 0000000083A0: D100002C 00F2597F
	v_cndmask_b32_e64 v45, v127, v45, s[60:61]                 // 0000000083A8: D100002D 00F25B7F
	v_cndmask_b32_e64 v46, v127, v46, s[60:61]                 // 0000000083B0: D100002E 00F25D7F
	v_cndmask_b32_e64 v47, v127, v47, s[60:61]                 // 0000000083B8: D100002F 00F25F7F
	s_branch label_110F                                        // 0000000083C0: BF820005

00000000000083c4 <label_110A>:
	v_mov_b32_e32 v44, v127                                    // 0000000083C4: 7E58037F
	v_mov_b32_e32 v45, v127                                    // 0000000083C8: 7E5A037F
	v_mov_b32_e32 v46, v127                                    // 0000000083CC: 7E5C037F
	v_mov_b32_e32 v47, v127                                    // 0000000083D0: 7E5E037F
	s_branch label_110F                                        // 0000000083D4: BF820000

00000000000083d8 <label_110F>:
	s_waitcnt lgkmcnt(8)                                       // 0000000083D8: BF8CC87F
	v_mfma_f32_16x16x32_bf16 v[60:63], v[72:75], a[64:67], 0   // 0000000083DC: D3B5003C 12028148
	v_exp_f32_e32 v36, v36                                     // 0000000083E4: 7E484124
	v_exp_f32_e32 v37, v37                                     // 0000000083E8: 7E4A4125
	v_mfma_f32_16x16x32_bf16 v[60:63], v[76:79], a[68:71], v[60:63]// 0000000083EC: D3B5003C 14F2894C
	v_exp_f32_e32 v38, v38                                     // 0000000083F4: 7E4C4126
	v_exp_f32_e32 v39, v39                                     // 0000000083F8: 7E4E4127
	v_mfma_f32_16x16x32_bf16 v[60:63], v[80:83], a[72:75], v[60:63]// 0000000083FC: D3B5003C 14F29150
	v_fma_f32 v44, v44, s57, -v104                             // 000000008404: D1CB002C 85A0732C
	v_fma_f32 v45, v45, s57, -v105                             // 00000000840C: D1CB002D 85A4732D
	v_exp_f32_e32 v40, v40                                     // 000000008414: 7E504128
	v_exp_f32_e32 v41, v41                                     // 000000008418: 7E524129
	buffer_atomic_pk_add_bf16 v108, v7, s[32:35], 0 offen      // 00000000841C: E1481000 80086C07
	v_mfma_f32_16x16x32_bf16 v[60:63], v[84:87], a[76:79], v[60:63]// 000000008424: D3B5003C 14F29954
	ds_read_b64_tr_b16 v[224:225], v13 offset:6144             // 00000000842C: D9C61800 E000000D
	ds_read_b64_tr_b16 v[226:227], v13 offset:6400             // 000000008434: D9C61900 E200000D
	ds_read_b64_tr_b16 v[228:229], v13 offset:7168             // 00000000843C: D9C61C00 E400000D
	ds_read_b64_tr_b16 v[230:231], v13 offset:7424             // 000000008444: D9C61D00 E600000D
	v_mfma_f32_16x16x32_bf16 v[64:67], v[72:75], a[80:83], 0   // 00000000844C: D3B50040 1202A148
	v_fma_f32 v46, v46, s57, -v106                             // 000000008454: D1CB002E 85A8732E
	v_fma_f32 v47, v47, s57, -v107                             // 00000000845C: D1CB002F 85AC732F
	v_exp_f32_e32 v42, v42                                     // 000000008464: 7E54412A
	v_exp_f32_e32 v43, v43                                     // 000000008468: 7E56412B
	v_mfma_f32_16x16x32_bf16 v[64:67], v[76:79], a[84:87], v[64:67]// 00000000846C: D3B50040 1502A94C
	ds_read_b64_tr_b16 v[232:233], v13 offset:8192             // 000000008474: D9C62000 E800000D
	ds_read_b64_tr_b16 v[234:235], v13 offset:8448             // 00000000847C: D9C62100 EA00000D
	ds_read_b64_tr_b16 v[236:237], v13 offset:9216             // 000000008484: D9C62400 EC00000D
	ds_read_b64_tr_b16 v[238:239], v13 offset:9472             // 00000000848C: D9C62500 EE00000D
	v_mfma_f32_16x16x32_bf16 v[64:67], v[80:83], a[88:91], v[64:67]// 000000008494: D3B50040 1502B150
	v_exp_f32_e32 v44, v44                                     // 00000000849C: 7E58412C
	v_exp_f32_e32 v45, v45                                     // 0000000084A0: 7E5A412D
	v_mfma_f32_16x16x32_bf16 v[64:67], v[84:87], a[92:95], v[64:67]// 0000000084A4: D3B50040 1502B954
	v_cvt_pk_bf16_f32 v120, v36, v37                           // 0000000084AC: D2680078 00024B24
	v_cvt_pk_bf16_f32 v121, v38, v39                           // 0000000084B4: D2680079 00024F26
	v_cvt_pk_bf16_f32 v122, v40, v41                           // 0000000084BC: D268007A 00025328
	v_cvt_pk_bf16_f32 v123, v42, v43                           // 0000000084C4: D268007B 0002572A
	v_mfma_f32_16x16x32_bf16 v[68:71], v[72:75], a[96:99], 0   // 0000000084CC: D3B50044 1202C148
	v_exp_f32_e32 v46, v46                                     // 0000000084D4: 7E5C412E
	v_exp_f32_e32 v47, v47                                     // 0000000084D8: 7E5E412F
	v_mfma_f32_16x16x32_bf16 v[68:71], v[76:79], a[100:103], v[68:71]// 0000000084DC: D3B50044 1512C94C
	v_permlane16_swap_b32_e32 v120, v122                       // 0000000084E4: 7EF0B37A
	v_permlane16_swap_b32_e32 v121, v123                       // 0000000084E8: 7EF2B37B
	v_mfma_f32_16x16x32_bf16 v[68:71], v[80:83], a[104:107], v[68:71]// 0000000084EC: D3B50044 1512D150
	v_cvt_pk_bf16_f32 v124, v44, v45                           // 0000000084F4: D268007C 00025B2C
	v_cvt_pk_bf16_f32 v125, v46, v47                           // 0000000084FC: D268007D 00025F2E
	buffer_atomic_pk_add_bf16 v109, v7, s[32:35], 0 offen offset:768// 000000008504: E1481300 80086D07
	v_mfma_f32_16x16x32_bf16 v[68:71], v[84:87], a[108:111], v[68:71]// 00000000850C: D3B50044 1512D954
	ds_read_b64_tr_b16 v[240:241], v13 offset:10240            // 000000008514: D9C62800 F000000D
	ds_read_b64_tr_b16 v[242:243], v13 offset:10496            // 00000000851C: D9C62900 F200000D
	ds_read_b64_tr_b16 v[244:245], v13 offset:11264            // 000000008524: D9C62C00 F400000D
	ds_read_b64_tr_b16 v[246:247], v13 offset:11520            // 00000000852C: D9C62D00 F600000D
	s_waitcnt lgkmcnt(12)                                      // 000000008534: BF8CCC7F
	v_mfma_f32_32x32x16_bf16 v[128:143], v[88:91], v[120:123], v[128:143]// 000000008538: D3B70080 0602F158
	v_subrev_f32_dpp v60, v126, v60 quad_perm:[0,0,0,0] row_mask:0xf bank_mask:0xf// 000000008540: 067878FA FF00007E
	v_subrev_f32_dpp v61, v126, v61 quad_perm:[1,1,1,1] row_mask:0xf bank_mask:0xf// 000000008548: 067A7AFA FF00557E
	v_subrev_f32_dpp v62, v126, v62 quad_perm:[2,2,2,2] row_mask:0xf bank_mask:0xf// 000000008550: 067C7CFA FF00AA7E
	v_subrev_f32_dpp v63, v126, v63 quad_perm:[3,3,3,3] row_mask:0xf bank_mask:0xf// 000000008558: 067E7EFA FF00FF7E
	v_subrev_f32_dpp v64, v126, v64 quad_perm:[0,0,0,0] row_mask:0xf bank_mask:0xf// 000000008560: 068080FA FF00007E
	v_subrev_f32_dpp v65, v126, v65 quad_perm:[1,1,1,1] row_mask:0xf bank_mask:0xf// 000000008568: 068282FA FF00557E
	v_subrev_f32_dpp v66, v126, v66 quad_perm:[2,2,2,2] row_mask:0xf bank_mask:0xf// 000000008570: 068484FA FF00AA7E
	v_subrev_f32_dpp v67, v126, v67 quad_perm:[3,3,3,3] row_mask:0xf bank_mask:0xf// 000000008578: 068686FA FF00FF7E
	v_mul_f32_e32 v60, v36, v60                                // 000000008580: 0A787924
	v_mul_f32_e32 v61, v37, v61                                // 000000008584: 0A7A7B25
	v_mul_f32_e32 v62, v38, v62                                // 000000008588: 0A7C7D26
	v_mul_f32_e32 v63, v39, v63                                // 00000000858C: 0A7E7F27
	v_mfma_f32_32x32x16_bf16 v[144:159], v[92:95], v[120:123], v[144:159]// 000000008590: D3B70090 0642F15C
	ds_read_b64_tr_b16 a[0:1], v19                             // 000000008598: DBC60000 00000013
	ds_read_b64_tr_b16 a[2:3], v19 offset:256                  // 0000000085A0: DBC60100 02000013
	ds_read_b64_tr_b16 a[4:5], v19 offset:12288                // 0000000085A8: DBC63000 04000013
	ds_read_b64_tr_b16 a[6:7], v19 offset:12544                // 0000000085B0: DBC63100 06000013
	ds_read_b64_tr_b16 a[8:9], v19 offset:24576                // 0000000085B8: DBC66000 08000013
	buffer_atomic_pk_add_bf16 v110, v8, s[32:35], 0 offen      // 0000000085C0: E1481000 80086E08
	v_mfma_f32_32x32x16_bf16 v[160:175], v[96:99], v[120:123], v[160:175]// 0000000085C8: D3B700A0 0682F160
	v_mul_f32_e32 v64, v40, v64                                // 0000000085D0: 0A808128
	v_mul_f32_e32 v65, v41, v65                                // 0000000085D4: 0A828329
	v_mul_f32_e32 v66, v42, v66                                // 0000000085D8: 0A84852A
	v_mul_f32_e32 v67, v43, v67                                // 0000000085DC: 0A86872B
	v_permlane16_swap_b32_e32 v88, v90                         // 0000000085E0: 7EB0B35A
	v_permlane16_swap_b32_e32 v89, v91                         // 0000000085E4: 7EB2B35B
	v_cvt_pk_bf16_f32 v60, v60, v61                            // 0000000085E8: D268003C 00027B3C
	v_cvt_pk_bf16_f32 v61, v62, v63                            // 0000000085F0: D268003D 00027F3E
	v_cvt_pk_bf16_f32 v62, v64, v65                            // 0000000085F8: D268003E 00028340
	v_cvt_pk_bf16_f32 v63, v66, v67                            // 000000008600: D268003F 00028742
	v_permlane16_swap_b32_e32 v92, v94                         // 000000008608: 7EB8B35E
	v_permlane16_swap_b32_e32 v93, v95                         // 00000000860C: 7EBAB35F
	v_mfma_f32_32x32x16_bf16 v[176:191], v[100:103], v[120:123], v[176:191]// 000000008610: D3B700B0 06C2F164
	ds_read_b64_tr_b16 a[10:11], v19 offset:24832              // 000000008618: DBC66100 0A000013
	ds_read_b64_tr_b16 a[12:13], v19 offset:36864              // 000000008620: DBC69000 0C000013
	ds_read_b64_tr_b16 a[14:15], v19 offset:37120              // 000000008628: DBC69100 0E000013
	ds_read_b64_tr_b16 a[16:17], v19 offset:49152              // 000000008630: DBC6C000 10000013
	ds_read_b64_tr_b16 a[18:19], v19 offset:49408              // 000000008638: DBC6C100 12000013
	ds_read_b32 v104, v16 offset:38656                         // 000000008640: D86C9700 68000010
	v_mfma_f32_16x16x16_bf16 v[192:195], v[88:89], v[124:125], v[192:195]// 000000008648: D3E100C0 0702F958
	v_permlane16_swap_b32_e32 v96, v98                         // 000000008650: 7EC0B362
	v_permlane16_swap_b32_e32 v97, v99                         // 000000008654: 7EC2B363
	v_subrev_f32_dpp v68, v126, v68 quad_perm:[0,0,0,0] row_mask:0xf bank_mask:0xf// 000000008658: 068888FA FF00007E
	v_subrev_f32_dpp v69, v126, v69 quad_perm:[1,1,1,1] row_mask:0xf bank_mask:0xf// 000000008660: 068A8AFA FF00557E
	v_mfma_f32_16x16x16_bf16 v[196:199], v[90:91], v[124:125], v[196:199]// 000000008668: D3E100C4 0712F95A
	buffer_atomic_pk_add_bf16 v111, v8, s[32:35], 0 offen offset:768// 000000008670: E1481300 80086F08
	ds_write_b64 v15, v[60:61] offset:30720                    // 000000008678: D89A7800 00003C0F
	ds_write_b64 v15, v[62:63] offset:33024                    // 000000008680: D89A8100 00003E0F
	v_mfma_f32_16x16x16_bf16 v[200:203], v[92:93], v[124:125], v[200:203]// 000000008688: D3E100C8 0722F95C
	v_permlane16_swap_b32_e32 v100, v102                       // 000000008690: 7EC8B366
	v_permlane16_swap_b32_e32 v101, v103                       // 000000008694: 7ECAB367
	v_subrev_f32_dpp v70, v126, v70 quad_perm:[2,2,2,2] row_mask:0xf bank_mask:0xf// 000000008698: 068C8CFA FF00AA7E
	v_subrev_f32_dpp v71, v126, v71 quad_perm:[3,3,3,3] row_mask:0xf bank_mask:0xf// 0000000086A0: 068E8EFA FF00FF7E
	v_mfma_f32_16x16x16_bf16 v[204:207], v[94:95], v[124:125], v[204:207]// 0000000086A8: D3E100CC 0732F95E
	v_permlane16_swap_b32_e32 v60, v62                         // 0000000086B0: 7E78B33E
	v_permlane16_swap_b32_e32 v61, v63                         // 0000000086B4: 7E7AB33F
	v_mfma_f32_16x16x16_bf16 v[208:211], v[96:97], v[124:125], v[208:211]// 0000000086B8: D3E100D0 0742F960
	v_mul_f32_e32 v68, v44, v68                                // 0000000086C0: 0A88892C
	v_mul_f32_e32 v69, v45, v69                                // 0000000086C4: 0A8A8B2D
	v_mul_f32_e32 v70, v46, v70                                // 0000000086C8: 0A8C8D2E
	v_mfma_f32_16x16x16_bf16 v[212:215], v[98:99], v[124:125], v[212:215]// 0000000086CC: D3E100D4 0752F962
	ds_read_b64_tr_b16 a[20:21], v19 offset:61440              // 0000000086D4: DBC6F000 14000013
	ds_read_b64_tr_b16 a[22:23], v19 offset:61696              // 0000000086DC: DBC6F100 16000013
	ds_read_b64_tr_b16 a[24:25], v20                           // 0000000086E4: DBC60000 18000014
	v_mfma_f32_16x16x16_bf16 v[216:219], v[100:101], v[124:125], v[216:219]// 0000000086EC: D3E100D8 0762F964
	v_mul_f32_e32 v71, v47, v71                                // 0000000086F4: 0A8E8F2F
	v_cvt_pk_bf16_f32 v64, v68, v69                            // 0000000086F8: D2680040 00028B44
	v_cvt_pk_bf16_f32 v65, v70, v71                            // 000000008700: D2680041 00028F46
	v_mfma_f32_16x16x16_bf16 v[220:223], v[102:103], v[124:125], v[220:223]// 000000008708: D3E100DC 0772F966
	ds_read_b32 v126, v16 offset:38912                         // 000000008710: D86C9800 7E000010
	ds_read_b64_tr_b16 a[26:27], v20 offset:256                // 000000008718: DBC60100 1A000014
	ds_read_b64_tr_b16 a[28:29], v20 offset:12288              // 000000008720: DBC63000 1C000014
	s_waitcnt lgkmcnt(8)                                       // 000000008728: BF8CC87F
	v_mfma_f32_32x32x16_bf16 a[112:127], v[224:227], v[60:63], a[112:127]// 00000000872C: D3B78070 05C279E0
	v_mul_f32_e32 v104, s48, v104                              // 000000008734: 0AD0D030
	buffer_atomic_pk_add_bf16 v112, v9, s[32:35], 0 offen      // 000000008738: E1481000 80087009
	v_mfma_f32_32x32x16_bf16 a[128:143], v[228:231], v[60:63], a[128:143]// 000000008740: D3B78080 060279E4
	ds_read_b64_tr_b16 a[30:31], v20 offset:12544              // 000000008748: DBC63100 1E000014
	ds_write_b64 v15, v[64:65] offset:35328                    // 000000008750: D89A8A00 0000400F
	ds_read_b64_tr_b16 a[32:33], v20 offset:24576              // 000000008758: DBC66000 20000014
	ds_read_b64_tr_b16 a[34:35], v20 offset:24832              // 000000008760: DBC66100 22000014
	v_mfma_f32_32x32x16_bf16 a[144:159], v[232:235], v[60:63], a[144:159]// 000000008768: D3B78090 064279E8
	.long 0x7fc0b3e2                                           // 000000008770: 7FC0B3E2
	.long 0x7fc2b3e3                                           // 000000008774: 7FC2B3E3
	v_mfma_f32_32x32x16_bf16 a[160:175], v[236:239], v[60:63], a[160:175]// 000000008778: D3B780A0 068279EC
	ds_read_b64_tr_b16 a[36:37], v20 offset:36864              // 000000008780: DBC69000 24000014
	ds_read_b64_tr_b16 a[38:39], v20 offset:37120              // 000000008788: DBC69100 26000014
	ds_read_b64_tr_b16 a[40:41], v20 offset:49152              // 000000008790: DBC6C000 28000014
	ds_read_b64_tr_b16 a[42:43], v20 offset:49408              // 000000008798: DBC6C100 2A000014
	ds_read_b64_tr_b16 a[44:45], v20 offset:61440              // 0000000087A0: DBC6F000 2C000014
	ds_read_b64_tr_b16 a[46:47], v20 offset:61696              // 0000000087A8: DBC6F100 2E000014
	s_waitcnt lgkmcnt(8)                                       // 0000000087B0: BF8CC87F
	s_barrier                                                  // 0000000087B4: BF8A0000
	v_mfma_f32_32x32x16_bf16 a[176:191], v[240:243], v[60:63], a[176:191]// 0000000087B8: D3B780B0 06C279F0
	.long 0x7fc8b3e6                                           // 0000000087C0: 7FC8B3E6
	.long 0x7fcab3e7                                           // 0000000087C4: 7FCAB3E7
	v_mov_b32_dpp v107, v104 quad_perm:[3,3,3,3] row_mask:0xf bank_mask:0xf// 0000000087C8: 7ED602FA FF00FF68
	v_mov_b32_dpp v106, v104 quad_perm:[2,2,2,2] row_mask:0xf bank_mask:0xf// 0000000087D0: 7ED402FA FF00AA68
	v_mfma_f32_32x32x16_bf16 a[192:207], v[244:247], v[60:63], a[192:207]// 0000000087D8: D3B780C0 070279F4
	ds_read_b64_tr_b16 v[36:37], v14 offset:30720              // 0000000087E0: D9C67800 2400000E
	ds_read_b64_tr_b16 v[38:39], v14 offset:30752              // 0000000087E8: D9C67820 2600000E
	ds_read_b64_tr_b16 v[40:41], v14 offset:31872              // 0000000087F0: D9C67C80 2800000E
	ds_read_b64_tr_b16 v[42:43], v14 offset:31904              // 0000000087F8: D9C67CA0 2A00000E
	ds_read_b64_tr_b16 v[44:45], v14 offset:33024              // 000000008800: D9C68100 2C00000E
	ds_read_b64_tr_b16 v[46:47], v14 offset:33056              // 000000008808: D9C68120 2E00000E
	v_mfma_f32_16x16x16_bf16 a[208:211], v[224:225], v[64:65], a[208:211]// 000000008810: D3E180D0 074281E0
	.long 0x7fd0b3ea                                           // 000000008818: 7FD0B3EA
	.long 0x7fd2b3eb                                           // 00000000881C: 7FD2B3EB
	v_mfma_f32_16x16x16_bf16 a[212:215], v[226:227], v[64:65], a[212:215]// 000000008820: D3E180D4 075281E2
	ds_read_b64_tr_b16 v[48:49], v14 offset:34176              // 000000008828: D9C68580 3000000E
	ds_read_b64_tr_b16 v[50:51], v14 offset:34208              // 000000008830: D9C685A0 3200000E
	ds_read_b64_tr_b16 v[52:53], v14 offset:35328              // 000000008838: D9C68A00 3400000E
	v_mfma_f32_16x16x16_bf16 a[216:219], v[228:229], v[64:65], a[216:219]// 000000008840: D3E180D8 076281E4
	v_permlane16_swap_b32_e32 v236, v238                       // 000000008848: 7FD8B3EE
	v_permlane16_swap_b32_e32 v237, v239                       // 00000000884C: 7FDAB3EF
	v_mfma_f32_16x16x16_bf16 a[220:223], v[230:231], v[64:65], a[220:223]// 000000008850: D3E180DC 077281E6
	ds_read_b64_tr_b16 v[54:55], v14 offset:35360              // 000000008858: D9C68A20 3600000E
	ds_read_b64_tr_b16 v[56:57], v14 offset:36480              // 000000008860: D9C68E80 3800000E
	ds_read_b64_tr_b16 v[58:59], v14 offset:36512              // 000000008868: D9C68EA0 3A00000E
	v_mfma_f32_16x16x16_bf16 a[224:227], v[232:233], v[64:65], a[224:227]// 000000008870: D3E180E0 078281E8
	v_permlane16_swap_b32_e32 v240, v242                       // 000000008878: 7FE0B3F2
	v_permlane16_swap_b32_e32 v241, v243                       // 00000000887C: 7FE2B3F3
	v_mfma_f32_16x16x16_bf16 a[228:231], v[234:235], v[64:65], a[228:231]// 000000008880: D3E180E4 079281EA
	ds_read_b64_tr_b16 a[48:49], v21                           // 000000008888: DBC60000 30000015
	ds_read_b64_tr_b16 a[50:51], v21 offset:256                // 000000008890: DBC60100 32000015
	ds_read_b64_tr_b16 a[52:53], v21 offset:12288              // 000000008898: DBC63000 34000015
	v_mfma_f32_16x16x16_bf16 a[232:235], v[236:237], v[64:65], a[232:235]// 0000000088A0: D3E180E8 07A281EC
	v_permlane16_swap_b32_e32 v244, v246                       // 0000000088A8: 7FE8B3F6
	v_permlane16_swap_b32_e32 v245, v247                       // 0000000088AC: 7FEAB3F7
	v_mfma_f32_16x16x16_bf16 a[236:239], v[238:239], v[64:65], a[236:239]// 0000000088B0: D3E180EC 07B281EE
	ds_read_b64_tr_b16 a[54:55], v21 offset:12544              // 0000000088B8: DBC63100 36000015
	ds_read_b64_tr_b16 a[56:57], v21 offset:24576              // 0000000088C0: DBC66000 38000015
	ds_read_b64_tr_b16 a[58:59], v21 offset:24832              // 0000000088C8: DBC66100 3A000015
	v_mfma_f32_16x16x16_bf16 a[240:243], v[240:241], v[64:65], a[240:243]// 0000000088D0: D3E180F0 07C281F0
	v_mov_b32_dpp v105, v104 quad_perm:[1,1,1,1] row_mask:0xf bank_mask:0xf// 0000000088D8: 7ED202FA FF005568
	buffer_atomic_pk_add_bf16 v113, v9, s[32:35], 0 offen offset:768// 0000000088E0: E1481300 80087109
	v_mfma_f32_16x16x16_bf16 a[244:247], v[242:243], v[64:65], a[244:247]// 0000000088E8: D3E180F4 07D281F2
	ds_read_b64_tr_b16 a[60:61], v21 offset:36864              // 0000000088F0: DBC69000 3C000015
	ds_read_b64_tr_b16 a[62:63], v21 offset:37120              // 0000000088F8: DBC69100 3E000015
	ds_read_b64_tr_b16 v[248:249], v21 offset:49152            // 000000008900: D9C6C000 F8000015
	v_mfma_f32_16x16x16_bf16 a[248:251], v[244:245], v[64:65], a[248:251]// 000000008908: D3E180F8 07E281F4
	v_mov_b32_dpp v104, v104 quad_perm:[0,0,0,0] row_mask:0xf bank_mask:0xf// 000000008910: 7ED002FA FF000068
	v_mfma_f32_16x16x16_bf16 a[252:255], v[246:247], v[64:65], a[252:255]// 000000008918: D3E180FC 07F281F6
	ds_read_b64_tr_b16 v[250:251], v21 offset:49408            // 000000008920: D9C6C100 FA000015
	ds_read_b64_tr_b16 v[252:253], v21 offset:61440            // 000000008928: D9C6F000 FC000015
	ds_read_b64_tr_b16 v[254:255], v21 offset:61696            // 000000008930: D9C6F100 FE000015
	s_waitcnt vmcnt(6) lgkmcnt(6)                              // 000000008938: BF8C0676
	s_barrier                                                  // 00000000893C: BF8A0000
	v_mfma_f32_16x16x32_bf16 v[108:111], a[0:3], v[36:39], 0   // 000000008940: D3B5006C 0A024900
	s_mov_b32 m0, s80                                          // 000000008948: BEFC0050
	buffer_load_dwordx4 v1, s[8:11], 0 idxen lds               // 00000000894C: E05D2000 80020001
	v_mfma_f32_16x16x32_bf16 v[108:111], a[4:7], v[40:43], v[108:111]// 000000008954: D3B5006C 0DB25104
	ds_read_b128 v[224:227], v12 offset:12288                  // 00000000895C: D9FE3000 E000000C
	ds_read_b128 v[228:231], v12 offset:13312                  // 000000008964: D9FE3400 E400000C
	v_mfma_f32_16x16x32_bf16 v[108:111], a[8:11], v[44:47], v[108:111]// 00000000896C: D3B5006C 0DB25908
	s_mov_b32 m0, s81                                          // 000000008974: BEFC0051
	buffer_load_dword v2, s[8:11], 0 idxen lds                 // 000000008978: E0512000 80020002
	v_mfma_f32_16x16x32_bf16 v[108:111], a[12:15], v[48:51], v[108:111]// 000000008980: D3B5006C 0DB2610C
	ds_read_b128 v[232:235], v12 offset:14336                  // 000000008988: D9FE3800 E800000C
	ds_read_b128 v[236:239], v12 offset:15360                  // 000000008990: D9FE3C00 EC00000C
	v_mfma_f32_16x16x32_bf16 v[108:111], a[16:19], v[52:55], v[108:111]// 000000008998: D3B5006C 0DB26910
	s_mov_b32 m0, s82                                          // 0000000089A0: BEFC0052
	buffer_load_dword v3, s[8:11], 0 idxen lds                 // 0000000089A4: E0512000 80020003
	v_mfma_f32_16x16x32_bf16 v[108:111], a[20:23], v[56:59], v[108:111]// 0000000089AC: D3B5006C 0DB27114
	ds_read_b128 v[240:243], v12 offset:16384                  // 0000000089B4: D9FE4000 F000000C
	ds_read_b128 v[244:247], v12 offset:17408                  // 0000000089BC: D9FE4400 F400000C
	v_mfma_f32_16x16x32_bf16 v[112:115], a[24:27], v[36:39], 0 // 0000000089C4: D3B50070 0A024918
	s_mov_b32 m0, s87                                          // 0000000089CC: BEFC0057
	buffer_load_dwordx4 v4, s[20:23], 0 idxen lds              // 0000000089D0: E05D2000 80050004
	v_mfma_f32_16x16x32_bf16 v[112:115], a[28:31], v[40:43], v[112:115]// 0000000089D8: D3B50070 0DC2511C
	ds_read_b128 a[0:3], v17                                   // 0000000089E0: DBFE0000 00000011
	ds_read_b128 a[4:7], v17 offset:1024                       // 0000000089E8: DBFE0400 04000011
	v_mfma_f32_16x16x32_bf16 v[112:115], a[32:35], v[44:47], v[112:115]// 0000000089F0: D3B50070 0DC25920
	v_mul_f32_e32 v108, s47, v108                              // 0000000089F8: 0AD8D82F
	v_mul_f32_e32 v109, s47, v109                              // 0000000089FC: 0ADADA2F
	s_mov_b32 m0, s75                                          // 000000008A00: BEFC004B
	buffer_load_dword v11, s[24:27], 0 idxen lds               // 000000008A04: E0512000 8006000B
	v_mfma_f32_16x16x32_bf16 v[112:115], a[36:39], v[48:51], v[112:115]// 000000008A0C: D3B50070 0DC26124
	ds_read_b128 a[8:11], v17 offset:2048                      // 000000008A14: DBFE0800 08000011
	ds_read_b128 a[12:15], v17 offset:3072                     // 000000008A1C: DBFE0C00 0C000011
	v_mfma_f32_16x16x32_bf16 v[112:115], a[40:43], v[52:55], v[112:115]// 000000008A24: D3B50070 0DC26928
	s_add_u32 s60, 64, s59                                     // 000000008A2C: 803C3BC0
	s_cmp_lt_u32 s60, s58                                      // 000000008A30: BF0A3A3C
	s_cselect_b32 s68, s68, 0                                  // 000000008A34: 85448044
	s_cselect_b32 s97, s97, 0                                  // 000000008A38: 85618061
	s_cselect_b32 s69, s69, 0                                  // 000000008A3C: 85458045
	v_mfma_f32_16x16x32_bf16 v[112:115], a[44:47], v[56:59], v[112:115]// 000000008A40: D3B50070 0DC2712C
	ds_read_b128 a[16:19], v17 offset:4096                     // 000000008A48: DBFE1000 10000011
	ds_read_b128 a[20:23], v17 offset:5120                     // 000000008A50: DBFE1400 14000011
	v_mfma_f32_16x16x32_bf16 v[116:119], a[48:51], v[36:39], 0 // 000000008A58: D3B50074 0A024930
	v_add_u32_e32 v1, s68, v1                                  // 000000008A60: 68020244
	v_add_u32_e32 v2, s68, v2                                  // 000000008A64: 68040444
	v_add_u32_e32 v3, s68, v3                                  // 000000008A68: 68060644
	v_add_u32_e32 v4, s97, v4                                  // 000000008A6C: 68080861
	v_add_u32_e32 v11, s69, v11                                // 000000008A70: 68161645
	v_mfma_f32_16x16x32_bf16 v[116:119], a[52:55], v[40:43], v[116:119]// 000000008A74: D3B50074 0DD25134
	ds_read_b128 a[24:27], v17 offset:24576                    // 000000008A7C: DBFE6000 18000011
	ds_read_b128 a[28:31], v17 offset:25600                    // 000000008A84: DBFE6400 1C000011
	s_waitcnt lgkmcnt(14)                                      // 000000008A8C: BF8CCE7F
	v_mfma_f32_16x16x32_bf16 v[116:119], a[56:59], v[44:47], v[116:119]// 000000008A90: D3B50074 0DD25938
	v_mul_f32_e32 v110, s47, v110                              // 000000008A98: 0ADCDC2F
	v_mul_f32_e32 v111, s47, v111                              // 000000008A9C: 0ADEDE2F
	s_cmp_ge_u32 s59, 16                                       // 000000008AA0: BF09903B
	s_cselect_b32 s66, s67, s66                                // 000000008AA4: 85424243
	v_mfma_f32_16x16x32_bf16 v[116:119], a[60:63], v[48:51], v[116:119]// 000000008AA8: D3B50074 0DD2613C
	ds_read_b128 a[32:35], v17 offset:26624                    // 000000008AB0: DBFE6800 20000011
	ds_read_b128 a[36:39], v17 offset:27648                    // 000000008AB8: DBFE6C00 24000011
	v_mfma_f32_16x16x32_bf16 v[116:119], v[248:251], v[52:55], v[116:119]// 000000008AC0: D3B50074 05D269F8
	s_addk_i32 s59, 0x10                                       // 000000008AC8: B73B0010
	v_mul_f32_e32 v112, s47, v112                              // 000000008ACC: 0AE0E02F
	v_mul_f32_e32 v113, s47, v113                              // 000000008AD0: 0AE2E22F
	s_cmp_lt_i32 s59, s58                                      // 000000008AD4: BF043A3B
	v_mfma_f32_16x16x32_bf16 v[116:119], v[252:255], v[56:59], v[116:119]// 000000008AD8: D3B50074 05D271FC
	ds_read_b128 a[40:43], v17 offset:28672                    // 000000008AE0: DBFE7000 28000011
	ds_read_b128 a[44:47], v17 offset:29696                    // 000000008AE8: DBFE7400 2C000011
	s_cbranch_scc0 label_0DB7                                  // 000000008AF0: BF84FAEB
	s_waitcnt lgkmcnt(2)                                       // 000000008AF4: BF8CC27F
	v_mfma_f32_16x16x32_bf16 v[36:39], v[224:227], a[0:3], 0   // 000000008AF8: D3B50024 120201E0
	v_add_u32_e32 v7, s66, v7                                  // 000000008B00: 680E0E42
	v_add_u32_e32 v8, s66, v8                                  // 000000008B04: 68101042
	v_add_u32_e32 v9, s66, v9                                  // 000000008B08: 68121242
	v_mfma_f32_16x16x32_bf16 v[36:39], v[228:231], a[4:7], v[36:39]// 000000008B0C: D3B50024 149209E4
	ds_read_b128 a[48:51], v17 offset:49152                    // 000000008B14: DBFEC000 30000011
	ds_read_b128 a[52:55], v17 offset:50176                    // 000000008B1C: DBFEC400 34000011
	v_mfma_f32_16x16x32_bf16 v[36:39], v[232:235], a[8:11], v[36:39]// 000000008B24: D3B50024 149211E8
	v_cvt_pk_bf16_f32 v108, v108, v109                         // 000000008B2C: D268006C 0002DB6C
	v_cvt_pk_bf16_f32 v109, v110, v111                         // 000000008B34: D268006D 0002DF6E
	v_mfma_f32_16x16x32_bf16 v[36:39], v[236:239], a[12:15], v[36:39]// 000000008B3C: D3B50024 149219EC
	ds_read_b128 a[56:59], v17 offset:51200                    // 000000008B44: DBFEC800 38000011
	ds_read_b128 a[60:63], v17 offset:52224                    // 000000008B4C: DBFECC00 3C000011
	v_mfma_f32_16x16x32_bf16 v[36:39], v[240:243], a[16:19], v[36:39]// 000000008B54: D3B50024 149221F0
	v_mul_f32_e32 v114, s47, v114                              // 000000008B5C: 0AE4E42F
	v_mul_f32_e32 v115, s47, v115                              // 000000008B60: 0AE6E62F
	v_mfma_f32_16x16x32_bf16 v[36:39], v[244:247], a[20:23], v[36:39]// 000000008B64: D3B50024 149229F4
	ds_read_b128 v[248:251], v17 offset:53248                  // 000000008B6C: D9FED000 F8000011
	ds_read_b128 v[252:255], v17 offset:54272                  // 000000008B74: D9FED400 FC000011
	v_mfma_f32_16x16x32_bf16 v[40:43], v[224:227], a[24:27], 0 // 000000008B7C: D3B50028 120231E0
	v_mul_f32_e32 v116, s47, v116                              // 000000008B84: 0AE8E82F
	v_mul_f32_e32 v117, s47, v117                              // 000000008B88: 0AEAEA2F
	v_mfma_f32_16x16x32_bf16 v[40:43], v[228:231], a[28:31], v[40:43]// 000000008B8C: D3B50028 14A239E4
	ds_read_b128 v[72:75], v12 offset:26624                    // 000000008B94: D9FE6800 4800000C
	ds_read_b128 v[76:79], v12 offset:27648                    // 000000008B9C: D9FE6C00 4C00000C
	v_mfma_f32_16x16x32_bf16 v[40:43], v[232:235], a[32:35], v[40:43]// 000000008BA4: D3B50028 14A241E8
	v_mul_f32_e32 v118, s47, v118                              // 000000008BAC: 0AECEC2F
	v_mul_f32_e32 v119, s47, v119                              // 000000008BB0: 0AEEEE2F
	v_cvt_pk_bf16_f32 v110, v112, v113                         // 000000008BB4: D268006E 0002E370
	v_cvt_pk_bf16_f32 v111, v114, v115                         // 000000008BBC: D268006F 0002E772
	v_mfma_f32_16x16x32_bf16 v[40:43], v[236:239], a[36:39], v[40:43]// 000000008BC4: D3B50028 14A249EC
	ds_read_b128 v[80:83], v12 offset:28672                    // 000000008BCC: D9FE7000 5000000C
	ds_read_b128 v[84:87], v12 offset:29696                    // 000000008BD4: D9FE7400 5400000C
	s_waitcnt lgkmcnt(10)                                      // 000000008BDC: BF8CCA7F
	v_mfma_f32_16x16x32_bf16 v[40:43], v[240:243], a[40:43], v[40:43]// 000000008BE0: D3B50028 14A251F0
	v_fma_f32 v36, v36, s57, -v104                             // 000000008BE8: D1CB0024 85A07324
	v_fma_f32 v37, v37, s57, -v105                             // 000000008BF0: D1CB0025 85A47325
	v_mfma_f32_16x16x32_bf16 v[40:43], v[244:247], a[44:47], v[40:43]// 000000008BF8: D3B50028 14A259F4
	ds_read_b64_tr_b16 v[88:89], v13 offset:26624              // 000000008C00: D9C66800 5800000D
	ds_read_b64_tr_b16 v[90:91], v13 offset:26880              // 000000008C08: D9C66900 5A00000D
	s_waitcnt lgkmcnt(10)                                      // 000000008C10: BF8CCA7F
	v_mfma_f32_16x16x32_bf16 v[44:47], v[224:227], a[48:51], 0 // 000000008C14: D3B5002C 120261E0
	v_fma_f32 v38, v38, s57, -v106                             // 000000008C1C: D1CB0026 85A87326
	v_fma_f32 v39, v39, s57, -v107                             // 000000008C24: D1CB0027 85AC7327
	v_mfma_f32_16x16x32_bf16 v[44:47], v[228:231], a[52:55], v[44:47]// 000000008C2C: D3B5002C 14B269E4
	ds_read_b64_tr_b16 v[92:93], v13 offset:27648              // 000000008C34: D9C66C00 5C00000D
	ds_read_b64_tr_b16 v[94:95], v13 offset:27904              // 000000008C3C: D9C66D00 5E00000D
	s_waitcnt lgkmcnt(10)                                      // 000000008C44: BF8CCA7F
	v_mfma_f32_16x16x32_bf16 v[44:47], v[232:235], a[56:59], v[44:47]// 000000008C48: D3B5002C 14B271E8
	v_fma_f32 v40, v40, s57, -v104                             // 000000008C50: D1CB0028 85A07328
	v_fma_f32 v41, v41, s57, -v105                             // 000000008C58: D1CB0029 85A47329
	v_cvt_pk_bf16_f32 v112, v116, v117                         // 000000008C60: D2680070 0002EB74
	v_cvt_pk_bf16_f32 v113, v118, v119                         // 000000008C68: D2680071 0002EF76
	v_mfma_f32_16x16x32_bf16 v[44:47], v[236:239], a[60:63], v[44:47]// 000000008C70: D3B5002C 14B279EC
	ds_read_b64_tr_b16 v[96:97], v13 offset:28672              // 000000008C78: D9C67000 6000000D
	ds_read_b64_tr_b16 v[98:99], v13 offset:28928              // 000000008C80: D9C67100 6200000D
	s_waitcnt lgkmcnt(10)                                      // 000000008C88: BF8CCA7F
	v_mfma_f32_16x16x32_bf16 v[44:47], v[240:243], v[248:251], v[44:47]// 000000008C8C: D3B5002C 04B3F1F0
	v_fma_f32 v42, v42, s57, -v106                             // 000000008C94: D1CB002A 85A8732A
	v_fma_f32 v43, v43, s57, -v107                             // 000000008C9C: D1CB002B 85AC732B
	v_mfma_f32_16x16x32_bf16 v[44:47], v[244:247], v[252:255], v[44:47]// 000000008CA4: D3B5002C 04B3F9F4
	ds_read_b64_tr_b16 v[100:101], v13 offset:29696            // 000000008CAC: D9C67400 6400000D
	ds_read_b64_tr_b16 v[102:103], v13 offset:29952            // 000000008CB4: D9C67500 6600000D
	s_cmp_lt_i32 s98, 0xc0                                     // 000000008CBC: BF04FF62 000000C0
	s_cbranch_scc0 label_139D                                  // 000000008CC4: BF84004D
	s_cmp_le_i32 s98, 64                                       // 000000008CC8: BF05C062
	s_cbranch_scc1 label_1354                                  // 000000008CCC: BF850007
	s_cmp_le_i32 s98, 0x80                                     // 000000008CD0: BF05FF62 00000080
	s_cbranch_scc1 label_136C                                  // 000000008CD8: BF850017
	s_cmp_lt_i32 s98, 0xc0                                     // 000000008CDC: BF04FF62 000000C0
	s_cbranch_scc1 label_1384                                  // 000000008CE4: BF85002C
	s_branch label_139D                                        // 000000008CE8: BF820044

0000000000008cec <label_1354>:
	s_mov_b32 s60, 0                                           // 000000008CEC: BEBC0080
	v_and_b32_e32 v32, 15, v0                                  // 000000008CF0: 2640008F
	v_add_u32_e64 v32, v32, s60                                // 000000008CF4: D1340020 00007920
	v_mul_i32_i24_e64 v33, s46, 16                             // 000000008CFC: D1060021 0001202E
	v_add_u32_e32 v32, v32, v33                                // 000000008D04: 68404320
	v_cmp_lt_u32_e64 s[60:61], v32, s98                        // 000000008D08: D0C9003C 0000C520
	s_nop 1                                                    // 000000008D10: BF800001
	v_cndmask_b32_e64 v36, v127, v36, s[60:61]                 // 000000008D14: D1000024 00F2497F
	v_cndmask_b32_e64 v37, v127, v37, s[60:61]                 // 000000008D1C: D1000025 00F24B7F
	v_cndmask_b32_e64 v38, v127, v38, s[60:61]                 // 000000008D24: D1000026 00F24D7F
	v_cndmask_b32_e64 v39, v127, v39, s[60:61]                 // 000000008D2C: D1000027 00F24F7F
	s_branch label_137F                                        // 000000008D34: BF820013

0000000000008d38 <label_136C>:
	s_mov_b32 s60, 64                                          // 000000008D38: BEBC00C0
	v_and_b32_e32 v32, 15, v0                                  // 000000008D3C: 2640008F
	v_add_u32_e64 v32, v32, s60                                // 000000008D40: D1340020 00007920
	v_mul_i32_i24_e64 v33, s46, 16                             // 000000008D48: D1060021 0001202E
	v_add_u32_e32 v32, v32, v33                                // 000000008D50: 68404320
	v_cmp_lt_u32_e64 s[60:61], v32, s98                        // 000000008D54: D0C9003C 0000C520
	s_nop 1                                                    // 000000008D5C: BF800001
	v_cndmask_b32_e64 v40, v127, v40, s[60:61]                 // 000000008D60: D1000028 00F2517F
	v_cndmask_b32_e64 v41, v127, v41, s[60:61]                 // 000000008D68: D1000029 00F2537F
	v_cndmask_b32_e64 v42, v127, v42, s[60:61]                 // 000000008D70: D100002A 00F2557F
	v_cndmask_b32_e64 v43, v127, v43, s[60:61]                 // 000000008D78: D100002B 00F2577F
	s_branch label_1398                                        // 000000008D80: BF820019

0000000000008d84 <label_137F>:
	v_mov_b32_e32 v40, v127                                    // 000000008D84: 7E50037F
	v_mov_b32_e32 v41, v127                                    // 000000008D88: 7E52037F
	v_mov_b32_e32 v42, v127                                    // 000000008D8C: 7E54037F
	v_mov_b32_e32 v43, v127                                    // 000000008D90: 7E56037F
	s_branch label_1398                                        // 000000008D94: BF820014

0000000000008d98 <label_1384>:
	s_mov_b32 s60, 0x80                                        // 000000008D98: BEBC00FF 00000080
	v_and_b32_e32 v32, 15, v0                                  // 000000008DA0: 2640008F
	v_add_u32_e64 v32, v32, s60                                // 000000008DA4: D1340020 00007920
	v_mul_i32_i24_e64 v33, s46, 16                             // 000000008DAC: D1060021 0001202E
	v_add_u32_e32 v32, v32, v33                                // 000000008DB4: 68404320
	v_cmp_lt_u32_e64 s[60:61], v32, s98                        // 000000008DB8: D0C9003C 0000C520
	s_nop 1                                                    // 000000008DC0: BF800001
	v_cndmask_b32_e64 v44, v127, v44, s[60:61]                 // 000000008DC4: D100002C 00F2597F
	v_cndmask_b32_e64 v45, v127, v45, s[60:61]                 // 000000008DCC: D100002D 00F25B7F
	v_cndmask_b32_e64 v46, v127, v46, s[60:61]                 // 000000008DD4: D100002E 00F25D7F
	v_cndmask_b32_e64 v47, v127, v47, s[60:61]                 // 000000008DDC: D100002F 00F25F7F
	s_branch label_139D                                        // 000000008DE4: BF820005

0000000000008de8 <label_1398>:
	v_mov_b32_e32 v44, v127                                    // 000000008DE8: 7E58037F
	v_mov_b32_e32 v45, v127                                    // 000000008DEC: 7E5A037F
	v_mov_b32_e32 v46, v127                                    // 000000008DF0: 7E5C037F
	v_mov_b32_e32 v47, v127                                    // 000000008DF4: 7E5E037F
	s_branch label_139D                                        // 000000008DF8: BF820000

0000000000008dfc <label_139D>:
	s_waitcnt lgkmcnt(8)                                       // 000000008DFC: BF8CC87F
	v_mfma_f32_16x16x32_bf16 v[60:63], v[72:75], a[64:67], 0   // 000000008E00: D3B5003C 12028148
	v_exp_f32_e32 v36, v36                                     // 000000008E08: 7E484124
	v_exp_f32_e32 v37, v37                                     // 000000008E0C: 7E4A4125
	v_mfma_f32_16x16x32_bf16 v[60:63], v[76:79], a[68:71], v[60:63]// 000000008E10: D3B5003C 14F2894C
	v_exp_f32_e32 v38, v38                                     // 000000008E18: 7E4C4126
	v_exp_f32_e32 v39, v39                                     // 000000008E1C: 7E4E4127
	v_mfma_f32_16x16x32_bf16 v[60:63], v[80:83], a[72:75], v[60:63]// 000000008E20: D3B5003C 14F29150
	v_fma_f32 v44, v44, s57, -v104                             // 000000008E28: D1CB002C 85A0732C
	v_fma_f32 v45, v45, s57, -v105                             // 000000008E30: D1CB002D 85A4732D
	v_exp_f32_e32 v40, v40                                     // 000000008E38: 7E504128
	v_exp_f32_e32 v41, v41                                     // 000000008E3C: 7E524129
	buffer_atomic_pk_add_bf16 v108, v7, s[32:35], 0 offen      // 000000008E40: E1481000 80086C07
	v_mfma_f32_16x16x32_bf16 v[60:63], v[84:87], a[76:79], v[60:63]// 000000008E48: D3B5003C 14F29954
	ds_read_b64_tr_b16 v[224:225], v13 offset:12288            // 000000008E50: D9C63000 E000000D
	ds_read_b64_tr_b16 v[226:227], v13 offset:12544            // 000000008E58: D9C63100 E200000D
	ds_read_b64_tr_b16 v[228:229], v13 offset:13312            // 000000008E60: D9C63400 E400000D
	ds_read_b64_tr_b16 v[230:231], v13 offset:13568            // 000000008E68: D9C63500 E600000D
	v_mfma_f32_16x16x32_bf16 v[64:67], v[72:75], a[80:83], 0   // 000000008E70: D3B50040 1202A148
	v_fma_f32 v46, v46, s57, -v106                             // 000000008E78: D1CB002E 85A8732E
	v_fma_f32 v47, v47, s57, -v107                             // 000000008E80: D1CB002F 85AC732F
	v_exp_f32_e32 v42, v42                                     // 000000008E88: 7E54412A
	v_exp_f32_e32 v43, v43                                     // 000000008E8C: 7E56412B
	v_mfma_f32_16x16x32_bf16 v[64:67], v[76:79], a[84:87], v[64:67]// 000000008E90: D3B50040 1502A94C
	ds_read_b64_tr_b16 v[232:233], v13 offset:14336            // 000000008E98: D9C63800 E800000D
	ds_read_b64_tr_b16 v[234:235], v13 offset:14592            // 000000008EA0: D9C63900 EA00000D
	ds_read_b64_tr_b16 v[236:237], v13 offset:15360            // 000000008EA8: D9C63C00 EC00000D
	ds_read_b64_tr_b16 v[238:239], v13 offset:15616            // 000000008EB0: D9C63D00 EE00000D
	v_mfma_f32_16x16x32_bf16 v[64:67], v[80:83], a[88:91], v[64:67]// 000000008EB8: D3B50040 1502B150
	v_exp_f32_e32 v44, v44                                     // 000000008EC0: 7E58412C
	v_exp_f32_e32 v45, v45                                     // 000000008EC4: 7E5A412D
	v_mfma_f32_16x16x32_bf16 v[64:67], v[84:87], a[92:95], v[64:67]// 000000008EC8: D3B50040 1502B954
	v_cvt_pk_bf16_f32 v120, v36, v37                           // 000000008ED0: D2680078 00024B24
	v_cvt_pk_bf16_f32 v121, v38, v39                           // 000000008ED8: D2680079 00024F26
	v_cvt_pk_bf16_f32 v122, v40, v41                           // 000000008EE0: D268007A 00025328
	v_cvt_pk_bf16_f32 v123, v42, v43                           // 000000008EE8: D268007B 0002572A
	v_mfma_f32_16x16x32_bf16 v[68:71], v[72:75], a[96:99], 0   // 000000008EF0: D3B50044 1202C148
	v_exp_f32_e32 v46, v46                                     // 000000008EF8: 7E5C412E
	v_exp_f32_e32 v47, v47                                     // 000000008EFC: 7E5E412F
	v_mfma_f32_16x16x32_bf16 v[68:71], v[76:79], a[100:103], v[68:71]// 000000008F00: D3B50044 1512C94C
	v_permlane16_swap_b32_e32 v120, v122                       // 000000008F08: 7EF0B37A
	v_permlane16_swap_b32_e32 v121, v123                       // 000000008F0C: 7EF2B37B
	v_mfma_f32_16x16x32_bf16 v[68:71], v[80:83], a[104:107], v[68:71]// 000000008F10: D3B50044 1512D150
	v_cvt_pk_bf16_f32 v124, v44, v45                           // 000000008F18: D268007C 00025B2C
	v_cvt_pk_bf16_f32 v125, v46, v47                           // 000000008F20: D268007D 00025F2E
	buffer_atomic_pk_add_bf16 v109, v7, s[32:35], 0 offen offset:768// 000000008F28: E1481300 80086D07
	v_mfma_f32_16x16x32_bf16 v[68:71], v[84:87], a[108:111], v[68:71]// 000000008F30: D3B50044 1512D954
	ds_read_b64_tr_b16 v[240:241], v13 offset:16384            // 000000008F38: D9C64000 F000000D
	ds_read_b64_tr_b16 v[242:243], v13 offset:16640            // 000000008F40: D9C64100 F200000D
	ds_read_b64_tr_b16 v[244:245], v13 offset:17408            // 000000008F48: D9C64400 F400000D
	ds_read_b64_tr_b16 v[246:247], v13 offset:17664            // 000000008F50: D9C64500 F600000D
	s_waitcnt lgkmcnt(12)                                      // 000000008F58: BF8CCC7F
	v_mfma_f32_32x32x16_bf16 v[128:143], v[88:91], v[120:123], v[128:143]// 000000008F5C: D3B70080 0602F158
	v_subrev_f32_dpp v60, v126, v60 quad_perm:[0,0,0,0] row_mask:0xf bank_mask:0xf// 000000008F64: 067878FA FF00007E
	v_subrev_f32_dpp v61, v126, v61 quad_perm:[1,1,1,1] row_mask:0xf bank_mask:0xf// 000000008F6C: 067A7AFA FF00557E
	v_subrev_f32_dpp v62, v126, v62 quad_perm:[2,2,2,2] row_mask:0xf bank_mask:0xf// 000000008F74: 067C7CFA FF00AA7E
	v_subrev_f32_dpp v63, v126, v63 quad_perm:[3,3,3,3] row_mask:0xf bank_mask:0xf// 000000008F7C: 067E7EFA FF00FF7E
	v_subrev_f32_dpp v64, v126, v64 quad_perm:[0,0,0,0] row_mask:0xf bank_mask:0xf// 000000008F84: 068080FA FF00007E
	v_subrev_f32_dpp v65, v126, v65 quad_perm:[1,1,1,1] row_mask:0xf bank_mask:0xf// 000000008F8C: 068282FA FF00557E
	v_subrev_f32_dpp v66, v126, v66 quad_perm:[2,2,2,2] row_mask:0xf bank_mask:0xf// 000000008F94: 068484FA FF00AA7E
	v_subrev_f32_dpp v67, v126, v67 quad_perm:[3,3,3,3] row_mask:0xf bank_mask:0xf// 000000008F9C: 068686FA FF00FF7E
	v_mul_f32_e32 v60, v36, v60                                // 000000008FA4: 0A787924
	v_mul_f32_e32 v61, v37, v61                                // 000000008FA8: 0A7A7B25
	v_mul_f32_e32 v62, v38, v62                                // 000000008FAC: 0A7C7D26
	v_mul_f32_e32 v63, v39, v63                                // 000000008FB0: 0A7E7F27
	v_mfma_f32_32x32x16_bf16 v[144:159], v[92:95], v[120:123], v[144:159]// 000000008FB4: D3B70090 0642F15C
	ds_read_b64_tr_b16 a[0:1], v19                             // 000000008FBC: DBC60000 00000013
	ds_read_b64_tr_b16 a[2:3], v19 offset:256                  // 000000008FC4: DBC60100 02000013
	ds_read_b64_tr_b16 a[4:5], v19 offset:12288                // 000000008FCC: DBC63000 04000013
	ds_read_b64_tr_b16 a[6:7], v19 offset:12544                // 000000008FD4: DBC63100 06000013
	ds_read_b64_tr_b16 a[8:9], v19 offset:24576                // 000000008FDC: DBC66000 08000013
	buffer_atomic_pk_add_bf16 v110, v8, s[32:35], 0 offen      // 000000008FE4: E1481000 80086E08
	v_mfma_f32_32x32x16_bf16 v[160:175], v[96:99], v[120:123], v[160:175]// 000000008FEC: D3B700A0 0682F160
	v_mul_f32_e32 v64, v40, v64                                // 000000008FF4: 0A808128
	v_mul_f32_e32 v65, v41, v65                                // 000000008FF8: 0A828329
	v_mul_f32_e32 v66, v42, v66                                // 000000008FFC: 0A84852A
	v_mul_f32_e32 v67, v43, v67                                // 000000009000: 0A86872B
	v_permlane16_swap_b32_e32 v88, v90                         // 000000009004: 7EB0B35A
	v_permlane16_swap_b32_e32 v89, v91                         // 000000009008: 7EB2B35B
	v_cvt_pk_bf16_f32 v60, v60, v61                            // 00000000900C: D268003C 00027B3C
	v_cvt_pk_bf16_f32 v61, v62, v63                            // 000000009014: D268003D 00027F3E
	v_cvt_pk_bf16_f32 v62, v64, v65                            // 00000000901C: D268003E 00028340
	v_cvt_pk_bf16_f32 v63, v66, v67                            // 000000009024: D268003F 00028742
	v_permlane16_swap_b32_e32 v92, v94                         // 00000000902C: 7EB8B35E
	v_permlane16_swap_b32_e32 v93, v95                         // 000000009030: 7EBAB35F
	v_mfma_f32_32x32x16_bf16 v[176:191], v[100:103], v[120:123], v[176:191]// 000000009034: D3B700B0 06C2F164
	ds_read_b64_tr_b16 a[10:11], v19 offset:24832              // 00000000903C: DBC66100 0A000013
	ds_read_b64_tr_b16 a[12:13], v19 offset:36864              // 000000009044: DBC69000 0C000013
	ds_read_b64_tr_b16 a[14:15], v19 offset:37120              // 00000000904C: DBC69100 0E000013
	ds_read_b64_tr_b16 a[16:17], v19 offset:49152              // 000000009054: DBC6C000 10000013
	ds_read_b64_tr_b16 a[18:19], v19 offset:49408              // 00000000905C: DBC6C100 12000013
	ds_read_b32 v104, v16 offset:37632                         // 000000009064: D86C9300 68000010
	v_mfma_f32_16x16x16_bf16 v[192:195], v[88:89], v[124:125], v[192:195]// 00000000906C: D3E100C0 0702F958
	v_permlane16_swap_b32_e32 v96, v98                         // 000000009074: 7EC0B362
	v_permlane16_swap_b32_e32 v97, v99                         // 000000009078: 7EC2B363
	v_subrev_f32_dpp v68, v126, v68 quad_perm:[0,0,0,0] row_mask:0xf bank_mask:0xf// 00000000907C: 068888FA FF00007E
	v_subrev_f32_dpp v69, v126, v69 quad_perm:[1,1,1,1] row_mask:0xf bank_mask:0xf// 000000009084: 068A8AFA FF00557E
	v_mfma_f32_16x16x16_bf16 v[196:199], v[90:91], v[124:125], v[196:199]// 00000000908C: D3E100C4 0712F95A
	buffer_atomic_pk_add_bf16 v111, v8, s[32:35], 0 offen offset:768// 000000009094: E1481300 80086F08
	ds_write_b64 v15, v[60:61] offset:30720                    // 00000000909C: D89A7800 00003C0F
	ds_write_b64 v15, v[62:63] offset:33024                    // 0000000090A4: D89A8100 00003E0F
	v_mfma_f32_16x16x16_bf16 v[200:203], v[92:93], v[124:125], v[200:203]// 0000000090AC: D3E100C8 0722F95C
	v_permlane16_swap_b32_e32 v100, v102                       // 0000000090B4: 7EC8B366
	v_permlane16_swap_b32_e32 v101, v103                       // 0000000090B8: 7ECAB367
	v_subrev_f32_dpp v70, v126, v70 quad_perm:[2,2,2,2] row_mask:0xf bank_mask:0xf// 0000000090BC: 068C8CFA FF00AA7E
	v_subrev_f32_dpp v71, v126, v71 quad_perm:[3,3,3,3] row_mask:0xf bank_mask:0xf// 0000000090C4: 068E8EFA FF00FF7E
	v_mfma_f32_16x16x16_bf16 v[204:207], v[94:95], v[124:125], v[204:207]// 0000000090CC: D3E100CC 0732F95E
	v_permlane16_swap_b32_e32 v60, v62                         // 0000000090D4: 7E78B33E
	v_permlane16_swap_b32_e32 v61, v63                         // 0000000090D8: 7E7AB33F
	v_mfma_f32_16x16x16_bf16 v[208:211], v[96:97], v[124:125], v[208:211]// 0000000090DC: D3E100D0 0742F960
	v_mul_f32_e32 v68, v44, v68                                // 0000000090E4: 0A88892C
	v_mul_f32_e32 v69, v45, v69                                // 0000000090E8: 0A8A8B2D
	v_mul_f32_e32 v70, v46, v70                                // 0000000090EC: 0A8C8D2E
	v_mfma_f32_16x16x16_bf16 v[212:215], v[98:99], v[124:125], v[212:215]// 0000000090F0: D3E100D4 0752F962
	ds_read_b64_tr_b16 a[20:21], v19 offset:61440              // 0000000090F8: DBC6F000 14000013
	ds_read_b64_tr_b16 a[22:23], v19 offset:61696              // 000000009100: DBC6F100 16000013
	ds_read_b64_tr_b16 a[24:25], v20                           // 000000009108: DBC60000 18000014
	v_mfma_f32_16x16x16_bf16 v[216:219], v[100:101], v[124:125], v[216:219]// 000000009110: D3E100D8 0762F964
	v_mul_f32_e32 v71, v47, v71                                // 000000009118: 0A8E8F2F
	v_cvt_pk_bf16_f32 v64, v68, v69                            // 00000000911C: D2680040 00028B44
	v_cvt_pk_bf16_f32 v65, v70, v71                            // 000000009124: D2680041 00028F46
	v_mfma_f32_16x16x16_bf16 v[220:223], v[102:103], v[124:125], v[220:223]// 00000000912C: D3E100DC 0772F966
	ds_read_b32 v126, v16 offset:37888                         // 000000009134: D86C9400 7E000010
	ds_read_b64_tr_b16 a[26:27], v20 offset:256                // 00000000913C: DBC60100 1A000014
	ds_read_b64_tr_b16 a[28:29], v20 offset:12288              // 000000009144: DBC63000 1C000014
	s_waitcnt lgkmcnt(8)                                       // 00000000914C: BF8CC87F
	v_mfma_f32_32x32x16_bf16 a[112:127], v[224:227], v[60:63], a[112:127]// 000000009150: D3B78070 05C279E0
	v_mul_f32_e32 v104, s48, v104                              // 000000009158: 0AD0D030
	buffer_atomic_pk_add_bf16 v112, v9, s[32:35], 0 offen      // 00000000915C: E1481000 80087009
	v_mfma_f32_32x32x16_bf16 a[128:143], v[228:231], v[60:63], a[128:143]// 000000009164: D3B78080 060279E4
	ds_read_b64_tr_b16 a[30:31], v20 offset:12544              // 00000000916C: DBC63100 1E000014
	ds_write_b64 v15, v[64:65] offset:35328                    // 000000009174: D89A8A00 0000400F
	ds_read_b64_tr_b16 a[32:33], v20 offset:24576              // 00000000917C: DBC66000 20000014
	ds_read_b64_tr_b16 a[34:35], v20 offset:24832              // 000000009184: DBC66100 22000014
	v_mfma_f32_32x32x16_bf16 a[144:159], v[232:235], v[60:63], a[144:159]// 00000000918C: D3B78090 064279E8
	.long 0x7fc0b3e2                                           // 000000009194: 7FC0B3E2
	.long 0x7fc2b3e3                                           // 000000009198: 7FC2B3E3
	v_mfma_f32_32x32x16_bf16 a[160:175], v[236:239], v[60:63], a[160:175]// 00000000919C: D3B780A0 068279EC
	ds_read_b64_tr_b16 a[36:37], v20 offset:36864              // 0000000091A4: DBC69000 24000014
	ds_read_b64_tr_b16 a[38:39], v20 offset:37120              // 0000000091AC: DBC69100 26000014
	ds_read_b64_tr_b16 a[40:41], v20 offset:49152              // 0000000091B4: DBC6C000 28000014
	ds_read_b64_tr_b16 a[42:43], v20 offset:49408              // 0000000091BC: DBC6C100 2A000014
	ds_read_b64_tr_b16 a[44:45], v20 offset:61440              // 0000000091C4: DBC6F000 2C000014
	ds_read_b64_tr_b16 a[46:47], v20 offset:61696              // 0000000091CC: DBC6F100 2E000014
	s_waitcnt lgkmcnt(8)                                       // 0000000091D4: BF8CC87F
	s_barrier                                                  // 0000000091D8: BF8A0000
	v_mfma_f32_32x32x16_bf16 a[176:191], v[240:243], v[60:63], a[176:191]// 0000000091DC: D3B780B0 06C279F0
	.long 0x7fc8b3e6                                           // 0000000091E4: 7FC8B3E6
	.long 0x7fcab3e7                                           // 0000000091E8: 7FCAB3E7
	v_mov_b32_dpp v107, v104 quad_perm:[3,3,3,3] row_mask:0xf bank_mask:0xf// 0000000091EC: 7ED602FA FF00FF68
	v_mov_b32_dpp v106, v104 quad_perm:[2,2,2,2] row_mask:0xf bank_mask:0xf// 0000000091F4: 7ED402FA FF00AA68
	v_mfma_f32_32x32x16_bf16 a[192:207], v[244:247], v[60:63], a[192:207]// 0000000091FC: D3B780C0 070279F4
	ds_read_b64_tr_b16 v[36:37], v14 offset:30720              // 000000009204: D9C67800 2400000E
	ds_read_b64_tr_b16 v[38:39], v14 offset:30752              // 00000000920C: D9C67820 2600000E
	ds_read_b64_tr_b16 v[40:41], v14 offset:31872              // 000000009214: D9C67C80 2800000E
	ds_read_b64_tr_b16 v[42:43], v14 offset:31904              // 00000000921C: D9C67CA0 2A00000E
	ds_read_b64_tr_b16 v[44:45], v14 offset:33024              // 000000009224: D9C68100 2C00000E
	ds_read_b64_tr_b16 v[46:47], v14 offset:33056              // 00000000922C: D9C68120 2E00000E
	v_mfma_f32_16x16x16_bf16 a[208:211], v[224:225], v[64:65], a[208:211]// 000000009234: D3E180D0 074281E0
	.long 0x7fd0b3ea                                           // 00000000923C: 7FD0B3EA
	.long 0x7fd2b3eb                                           // 000000009240: 7FD2B3EB
	v_mfma_f32_16x16x16_bf16 a[212:215], v[226:227], v[64:65], a[212:215]// 000000009244: D3E180D4 075281E2
	ds_read_b64_tr_b16 v[48:49], v14 offset:34176              // 00000000924C: D9C68580 3000000E
	ds_read_b64_tr_b16 v[50:51], v14 offset:34208              // 000000009254: D9C685A0 3200000E
	ds_read_b64_tr_b16 v[52:53], v14 offset:35328              // 00000000925C: D9C68A00 3400000E
	v_mfma_f32_16x16x16_bf16 a[216:219], v[228:229], v[64:65], a[216:219]// 000000009264: D3E180D8 076281E4
	v_permlane16_swap_b32_e32 v236, v238                       // 00000000926C: 7FD8B3EE
	v_permlane16_swap_b32_e32 v237, v239                       // 000000009270: 7FDAB3EF
	v_mfma_f32_16x16x16_bf16 a[220:223], v[230:231], v[64:65], a[220:223]// 000000009274: D3E180DC 077281E6
	ds_read_b64_tr_b16 v[54:55], v14 offset:35360              // 00000000927C: D9C68A20 3600000E
	ds_read_b64_tr_b16 v[56:57], v14 offset:36480              // 000000009284: D9C68E80 3800000E
	ds_read_b64_tr_b16 v[58:59], v14 offset:36512              // 00000000928C: D9C68EA0 3A00000E
	v_mfma_f32_16x16x16_bf16 a[224:227], v[232:233], v[64:65], a[224:227]// 000000009294: D3E180E0 078281E8
	v_permlane16_swap_b32_e32 v240, v242                       // 00000000929C: 7FE0B3F2
	v_permlane16_swap_b32_e32 v241, v243                       // 0000000092A0: 7FE2B3F3
	v_mfma_f32_16x16x16_bf16 a[228:231], v[234:235], v[64:65], a[228:231]// 0000000092A4: D3E180E4 079281EA
	ds_read_b64_tr_b16 a[48:49], v21                           // 0000000092AC: DBC60000 30000015
	ds_read_b64_tr_b16 a[50:51], v21 offset:256                // 0000000092B4: DBC60100 32000015
	ds_read_b64_tr_b16 a[52:53], v21 offset:12288              // 0000000092BC: DBC63000 34000015
	v_mfma_f32_16x16x16_bf16 a[232:235], v[236:237], v[64:65], a[232:235]// 0000000092C4: D3E180E8 07A281EC
	v_permlane16_swap_b32_e32 v244, v246                       // 0000000092CC: 7FE8B3F6
	v_permlane16_swap_b32_e32 v245, v247                       // 0000000092D0: 7FEAB3F7
	v_mfma_f32_16x16x16_bf16 a[236:239], v[238:239], v[64:65], a[236:239]// 0000000092D4: D3E180EC 07B281EE
	ds_read_b64_tr_b16 a[54:55], v21 offset:12544              // 0000000092DC: DBC63100 36000015
	ds_read_b64_tr_b16 a[56:57], v21 offset:24576              // 0000000092E4: DBC66000 38000015
	ds_read_b64_tr_b16 a[58:59], v21 offset:24832              // 0000000092EC: DBC66100 3A000015
	v_mfma_f32_16x16x16_bf16 a[240:243], v[240:241], v[64:65], a[240:243]// 0000000092F4: D3E180F0 07C281F0
	v_mov_b32_dpp v105, v104 quad_perm:[1,1,1,1] row_mask:0xf bank_mask:0xf// 0000000092FC: 7ED202FA FF005568
	buffer_atomic_pk_add_bf16 v113, v9, s[32:35], 0 offen offset:768// 000000009304: E1481300 80087109
	v_mfma_f32_16x16x16_bf16 a[244:247], v[242:243], v[64:65], a[244:247]// 00000000930C: D3E180F4 07D281F2
	ds_read_b64_tr_b16 a[60:61], v21 offset:36864              // 000000009314: DBC69000 3C000015
	ds_read_b64_tr_b16 a[62:63], v21 offset:37120              // 00000000931C: DBC69100 3E000015
	ds_read_b64_tr_b16 v[248:249], v21 offset:49152            // 000000009324: D9C6C000 F8000015
	v_mfma_f32_16x16x16_bf16 a[248:251], v[244:245], v[64:65], a[248:251]// 00000000932C: D3E180F8 07E281F4
	v_mov_b32_dpp v104, v104 quad_perm:[0,0,0,0] row_mask:0xf bank_mask:0xf// 000000009334: 7ED002FA FF000068
	v_mfma_f32_16x16x16_bf16 a[252:255], v[246:247], v[64:65], a[252:255]// 00000000933C: D3E180FC 07F281F6
	ds_read_b64_tr_b16 v[250:251], v21 offset:49408            // 000000009344: D9C6C100 FA000015
	ds_read_b64_tr_b16 v[252:253], v21 offset:61440            // 00000000934C: D9C6F000 FC000015
	ds_read_b64_tr_b16 v[254:255], v21 offset:61696            // 000000009354: D9C6F100 FE000015
	s_waitcnt vmcnt(6) lgkmcnt(6)                              // 00000000935C: BF8C0676
	s_barrier                                                  // 000000009360: BF8A0000
	v_mfma_f32_16x16x32_bf16 v[108:111], a[0:3], v[36:39], 0   // 000000009364: D3B5006C 0A024900
	s_mov_b32 m0, s83                                          // 00000000936C: BEFC0053
	buffer_load_dwordx4 v1, s[8:11], 0 idxen lds               // 000000009370: E05D2000 80020001
	v_mfma_f32_16x16x32_bf16 v[108:111], a[4:7], v[40:43], v[108:111]// 000000009378: D3B5006C 0DB25104
	ds_read_b128 v[224:227], v12                               // 000000009380: D9FE0000 E000000C
	ds_read_b128 v[228:231], v12 offset:1024                   // 000000009388: D9FE0400 E400000C
	v_mfma_f32_16x16x32_bf16 v[108:111], a[8:11], v[44:47], v[108:111]// 000000009390: D3B5006C 0DB25908
	s_mov_b32 m0, s84                                          // 000000009398: BEFC0054
	buffer_load_dword v2, s[8:11], 0 idxen lds                 // 00000000939C: E0512000 80020002
	v_mfma_f32_16x16x32_bf16 v[108:111], a[12:15], v[48:51], v[108:111]// 0000000093A4: D3B5006C 0DB2610C
	ds_read_b128 v[232:235], v12 offset:2048                   // 0000000093AC: D9FE0800 E800000C
	ds_read_b128 v[236:239], v12 offset:3072                   // 0000000093B4: D9FE0C00 EC00000C
	v_mfma_f32_16x16x32_bf16 v[108:111], a[16:19], v[52:55], v[108:111]// 0000000093BC: D3B5006C 0DB26910
	s_mov_b32 m0, s85                                          // 0000000093C4: BEFC0055
	buffer_load_dword v3, s[8:11], 0 idxen lds                 // 0000000093C8: E0512000 80020003
	v_mfma_f32_16x16x32_bf16 v[108:111], a[20:23], v[56:59], v[108:111]// 0000000093D0: D3B5006C 0DB27114
	ds_read_b128 v[240:243], v12 offset:4096                   // 0000000093D8: D9FE1000 F000000C
	ds_read_b128 v[244:247], v12 offset:5120                   // 0000000093E0: D9FE1400 F400000C
	v_mfma_f32_16x16x32_bf16 v[112:115], a[24:27], v[36:39], 0 // 0000000093E8: D3B50070 0A024918
	s_mov_b32 m0, s88                                          // 0000000093F0: BEFC0058
	buffer_load_dwordx4 v4, s[20:23], 0 idxen lds              // 0000000093F4: E05D2000 80050004
	v_mfma_f32_16x16x32_bf16 v[112:115], a[28:31], v[40:43], v[112:115]// 0000000093FC: D3B50070 0DC2511C
	ds_read_b128 a[0:3], v17                                   // 000000009404: DBFE0000 00000011
	ds_read_b128 a[4:7], v17 offset:1024                       // 00000000940C: DBFE0400 04000011
	v_mfma_f32_16x16x32_bf16 v[112:115], a[32:35], v[44:47], v[112:115]// 000000009414: D3B50070 0DC25920
	v_mul_f32_e32 v108, s47, v108                              // 00000000941C: 0AD8D82F
	v_mul_f32_e32 v109, s47, v109                              // 000000009420: 0ADADA2F
	s_mov_b32 m0, s76                                          // 000000009424: BEFC004C
	buffer_load_dword v11, s[24:27], 0 idxen lds               // 000000009428: E0512000 8006000B
	v_mfma_f32_16x16x32_bf16 v[112:115], a[36:39], v[48:51], v[112:115]// 000000009430: D3B50070 0DC26124
	ds_read_b128 a[8:11], v17 offset:2048                      // 000000009438: DBFE0800 08000011
	ds_read_b128 a[12:15], v17 offset:3072                     // 000000009440: DBFE0C00 0C000011
	v_mfma_f32_16x16x32_bf16 v[112:115], a[40:43], v[52:55], v[112:115]// 000000009448: D3B50070 0DC26928
	s_add_u32 s60, 64, s59                                     // 000000009450: 803C3BC0
	s_cmp_lt_u32 s60, s58                                      // 000000009454: BF0A3A3C
	s_cselect_b32 s68, s68, 0                                  // 000000009458: 85448044
	s_cselect_b32 s97, s97, 0                                  // 00000000945C: 85618061
	s_cselect_b32 s69, s69, 0                                  // 000000009460: 85458045
	v_mfma_f32_16x16x32_bf16 v[112:115], a[44:47], v[56:59], v[112:115]// 000000009464: D3B50070 0DC2712C
	ds_read_b128 a[16:19], v17 offset:4096                     // 00000000946C: DBFE1000 10000011
	ds_read_b128 a[20:23], v17 offset:5120                     // 000000009474: DBFE1400 14000011
	v_mfma_f32_16x16x32_bf16 v[116:119], a[48:51], v[36:39], 0 // 00000000947C: D3B50074 0A024930
	v_add_u32_e32 v1, s68, v1                                  // 000000009484: 68020244
	v_add_u32_e32 v2, s68, v2                                  // 000000009488: 68040444
	v_add_u32_e32 v3, s68, v3                                  // 00000000948C: 68060644
	v_add_u32_e32 v4, s97, v4                                  // 000000009490: 68080861
	v_add_u32_e32 v11, s69, v11                                // 000000009494: 68161645
	v_mfma_f32_16x16x32_bf16 v[116:119], a[52:55], v[40:43], v[116:119]// 000000009498: D3B50074 0DD25134
	ds_read_b128 a[24:27], v17 offset:24576                    // 0000000094A0: DBFE6000 18000011
	ds_read_b128 a[28:31], v17 offset:25600                    // 0000000094A8: DBFE6400 1C000011
	s_waitcnt lgkmcnt(14)                                      // 0000000094B0: BF8CCE7F
	v_mfma_f32_16x16x32_bf16 v[116:119], a[56:59], v[44:47], v[116:119]// 0000000094B4: D3B50074 0DD25938
	v_mul_f32_e32 v110, s47, v110                              // 0000000094BC: 0ADCDC2F
	v_mul_f32_e32 v111, s47, v111                              // 0000000094C0: 0ADEDE2F
	s_cmp_ge_u32 s59, 16                                       // 0000000094C4: BF09903B
	s_cselect_b32 s66, s67, s66                                // 0000000094C8: 85424243
	v_mfma_f32_16x16x32_bf16 v[116:119], a[60:63], v[48:51], v[116:119]// 0000000094CC: D3B50074 0DD2613C
	ds_read_b128 a[32:35], v17 offset:26624                    // 0000000094D4: DBFE6800 20000011
	ds_read_b128 a[36:39], v17 offset:27648                    // 0000000094DC: DBFE6C00 24000011
	v_mfma_f32_16x16x32_bf16 v[116:119], v[248:251], v[52:55], v[116:119]// 0000000094E4: D3B50074 05D269F8
	s_addk_i32 s59, 0x10                                       // 0000000094EC: B73B0010
	v_mul_f32_e32 v112, s47, v112                              // 0000000094F0: 0AE0E02F
	v_mul_f32_e32 v113, s47, v113                              // 0000000094F4: 0AE2E22F
	s_cmp_lt_i32 s59, s58                                      // 0000000094F8: BF043A3B
	v_mfma_f32_16x16x32_bf16 v[116:119], v[252:255], v[56:59], v[116:119]// 0000000094FC: D3B50074 05D271FC
	ds_read_b128 a[40:43], v17 offset:28672                    // 000000009504: DBFE7000 28000011
	ds_read_b128 a[44:47], v17 offset:29696                    // 00000000950C: DBFE7400 2C000011
	s_cbranch_scc0 label_0DB7                                  // 000000009514: BF84F862
	s_branch label_0DBA                                        // 000000009518: BF82F864

000000000000951c <label_1565>:
	v_lshlrev_b32_e32 v24, 1, v0                               // 00000000951C: 24300081
	s_mul_i32 s60, s46, 0xcc0                                  // 000000009520: 923CFF2E 00000CC0
	v_add_u32_e32 v24, s60, v24                                // 000000009528: 6830303C
	v_lshlrev_b32_e32 v24, 2, v24                              // 00000000952C: 24303082
	v_lshlrev_b32_e32 v25, 1, v0                               // 000000009530: 24320081
	v_lshrrev_b32_e32 v32, 5, v0                               // 000000009534: 20400085
	v_mul_i32_i24_e32 v32, 8, v32                              // 000000009538: 0C404088
	v_add_u32_e32 v25, v32, v25                                // 00000000953C: 68323320
	s_mul_i32 s60, s46, 0x6c0                                  // 000000009540: 923CFF2E 000006C0
	v_add_u32_e32 v25, s60, v25                                // 000000009548: 6832323C
	v_lshlrev_b32_e32 v25, 2, v25                              // 00000000954C: 24323282
	v_mul_f32_e32 v114, s47, v114                              // 000000009550: 0AE4E42F
	v_mul_f32_e32 v115, s47, v115                              // 000000009554: 0AE6E62F
	v_mul_f32_e32 v116, s47, v116                              // 000000009558: 0AE8E82F
	v_mul_f32_e32 v117, s47, v117                              // 00000000955C: 0AEAEA2F
	v_mul_f32_e32 v118, s47, v118                              // 000000009560: 0AECEC2F
	v_mul_f32_e32 v119, s47, v119                              // 000000009564: 0AEEEE2F
	v_cvt_pk_bf16_f32 v108, v108, v109                         // 000000009568: D268006C 0002DB6C
	v_cvt_pk_bf16_f32 v109, v110, v111                         // 000000009570: D268006D 0002DF6E
	v_cvt_pk_bf16_f32 v110, v112, v113                         // 000000009578: D268006E 0002E370
	v_cvt_pk_bf16_f32 v111, v114, v115                         // 000000009580: D268006F 0002E772
	v_cvt_pk_bf16_f32 v112, v116, v117                         // 000000009588: D2680070 0002EB74
	v_cvt_pk_bf16_f32 v113, v118, v119                         // 000000009590: D2680071 0002EF76
	v_add_u32_e32 v7, s66, v7                                  // 000000009598: 680E0E42
	v_add_u32_e32 v8, s66, v8                                  // 00000000959C: 68101042
	v_add_u32_e32 v9, s66, v9                                  // 0000000095A0: 68121242
	buffer_atomic_pk_add_bf16 v108, v7, s[32:35], 0 offen      // 0000000095A4: E1481000 80086C07
	buffer_atomic_pk_add_bf16 v109, v7, s[32:35], 0 offen offset:768// 0000000095AC: E1481300 80086D07
	buffer_atomic_pk_add_bf16 v110, v8, s[32:35], 0 offen      // 0000000095B4: E1481000 80086E08
	buffer_atomic_pk_add_bf16 v111, v8, s[32:35], 0 offen offset:768// 0000000095BC: E1481300 80086F08
	buffer_atomic_pk_add_bf16 v112, v9, s[32:35], 0 offen      // 0000000095C4: E1481000 80087009
	buffer_atomic_pk_add_bf16 v113, v9, s[32:35], 0 offen offset:768// 0000000095CC: E1481300 80087109
	v_lshrrev_b32_e32 v32, 3, v0                               // 0000000095D4: 20400083
	v_mul_i32_i24_e32 v22, 2, v32                              // 0000000095D8: 0C2C4082
	v_and_b32_e32 v32, 7, v0                                   // 0000000095DC: 26400087
	v_mul_i32_i24_e32 v33, 0x88, v32                           // 0000000095E0: 0C4240FF 00000088
	v_add_u32_e32 v22, v33, v22                                // 0000000095E8: 682C2D21
	s_mul_i32 s60, s46, 0xcc0                                  // 0000000095EC: 923CFF2E 00000CC0
	v_add_u32_e32 v22, s60, v22                                // 0000000095F4: 682C2C3C
	v_lshlrev_b32_e32 v22, 2, v22                              // 0000000095F8: 242C2C82
	v_lshrrev_b32_e32 v32, 3, v0                               // 0000000095FC: 20400083
	v_mul_i32_i24_e32 v23, 2, v32                              // 000000009600: 0C2E4082
	v_and_b32_e32 v32, 7, v0                                   // 000000009604: 26400087
	v_mul_i32_i24_e32 v33, 0x48, v32                           // 000000009608: 0C4240FF 00000048
	v_add_u32_e32 v23, v33, v23                                // 000000009610: 682E2F21
	s_mul_i32 s60, s46, 0x6c0                                  // 000000009614: 923CFF2E 000006C0
	v_add_u32_e32 v23, s60, v23                                // 00000000961C: 682E2E3C
	v_lshlrev_b32_e32 v23, 2, v23                              // 000000009620: 242E2E82
	s_waitcnt vmcnt(0) expcnt(0) lgkmcnt(0)                    // 000000009624: BF8C0000
	s_barrier                                                  // 000000009628: BF8A0000
	v_mov_b32_e32 v34, v128                                    // 00000000962C: 7E440380
	v_mov_b32_e32 v35, v129                                    // 000000009630: 7E460381
	v_cvt_pk_bf16_f32 v128, v34, v35                           // 000000009634: D2680080 00024722
	v_mov_b32_e32 v34, v130                                    // 00000000963C: 7E440382
	v_mov_b32_e32 v35, v131                                    // 000000009640: 7E460383
	v_cvt_pk_bf16_f32 v129, v34, v35                           // 000000009644: D2680081 00024722
	v_mov_b32_e32 v34, v132                                    // 00000000964C: 7E440384
	v_mov_b32_e32 v35, v133                                    // 000000009650: 7E460385
	v_cvt_pk_bf16_f32 v130, v34, v35                           // 000000009654: D2680082 00024722
	v_mov_b32_e32 v34, v134                                    // 00000000965C: 7E440386
	v_mov_b32_e32 v35, v135                                    // 000000009660: 7E460387
	v_cvt_pk_bf16_f32 v131, v34, v35                           // 000000009664: D2680083 00024722
	v_mov_b32_e32 v34, v136                                    // 00000000966C: 7E440388
	v_mov_b32_e32 v35, v137                                    // 000000009670: 7E460389
	v_cvt_pk_bf16_f32 v132, v34, v35                           // 000000009674: D2680084 00024722
	v_mov_b32_e32 v34, v138                                    // 00000000967C: 7E44038A
	v_mov_b32_e32 v35, v139                                    // 000000009680: 7E46038B
	v_cvt_pk_bf16_f32 v133, v34, v35                           // 000000009684: D2680085 00024722
	v_mov_b32_e32 v34, v140                                    // 00000000968C: 7E44038C
	v_mov_b32_e32 v35, v141                                    // 000000009690: 7E46038D
	v_cvt_pk_bf16_f32 v134, v34, v35                           // 000000009694: D2680086 00024722
	v_mov_b32_e32 v34, v142                                    // 00000000969C: 7E44038E
	v_mov_b32_e32 v35, v143                                    // 0000000096A0: 7E46038F
	v_cvt_pk_bf16_f32 v135, v34, v35                           // 0000000096A4: D2680087 00024722
	v_mov_b32_e32 v34, v144                                    // 0000000096AC: 7E440390
	v_mov_b32_e32 v35, v145                                    // 0000000096B0: 7E460391
	v_cvt_pk_bf16_f32 v136, v34, v35                           // 0000000096B4: D2680088 00024722
	v_mov_b32_e32 v34, v146                                    // 0000000096BC: 7E440392
	v_mov_b32_e32 v35, v147                                    // 0000000096C0: 7E460393
	v_cvt_pk_bf16_f32 v137, v34, v35                           // 0000000096C4: D2680089 00024722
	v_mov_b32_e32 v34, v148                                    // 0000000096CC: 7E440394
	v_mov_b32_e32 v35, v149                                    // 0000000096D0: 7E460395
	v_cvt_pk_bf16_f32 v138, v34, v35                           // 0000000096D4: D268008A 00024722
	v_mov_b32_e32 v34, v150                                    // 0000000096DC: 7E440396
	v_mov_b32_e32 v35, v151                                    // 0000000096E0: 7E460397
	v_cvt_pk_bf16_f32 v139, v34, v35                           // 0000000096E4: D268008B 00024722
	v_mov_b32_e32 v34, v152                                    // 0000000096EC: 7E440398
	v_mov_b32_e32 v35, v153                                    // 0000000096F0: 7E460399
	v_cvt_pk_bf16_f32 v140, v34, v35                           // 0000000096F4: D268008C 00024722
	v_mov_b32_e32 v34, v154                                    // 0000000096FC: 7E44039A
	v_mov_b32_e32 v35, v155                                    // 000000009700: 7E46039B
	v_cvt_pk_bf16_f32 v141, v34, v35                           // 000000009704: D268008D 00024722
	v_mov_b32_e32 v34, v156                                    // 00000000970C: 7E44039C
	v_mov_b32_e32 v35, v157                                    // 000000009710: 7E46039D
	v_cvt_pk_bf16_f32 v142, v34, v35                           // 000000009714: D268008E 00024722
	v_mov_b32_e32 v34, v158                                    // 00000000971C: 7E44039E
	v_mov_b32_e32 v35, v159                                    // 000000009720: 7E46039F
	v_cvt_pk_bf16_f32 v143, v34, v35                           // 000000009724: D268008F 00024722
	v_mov_b32_e32 v34, v160                                    // 00000000972C: 7E4403A0
	v_mov_b32_e32 v35, v161                                    // 000000009730: 7E4603A1
	v_cvt_pk_bf16_f32 v144, v34, v35                           // 000000009734: D2680090 00024722
	v_mov_b32_e32 v34, v162                                    // 00000000973C: 7E4403A2
	v_mov_b32_e32 v35, v163                                    // 000000009740: 7E4603A3
	v_cvt_pk_bf16_f32 v145, v34, v35                           // 000000009744: D2680091 00024722
	v_mov_b32_e32 v34, v164                                    // 00000000974C: 7E4403A4
	v_mov_b32_e32 v35, v165                                    // 000000009750: 7E4603A5
	v_cvt_pk_bf16_f32 v146, v34, v35                           // 000000009754: D2680092 00024722
	v_mov_b32_e32 v34, v166                                    // 00000000975C: 7E4403A6
	v_mov_b32_e32 v35, v167                                    // 000000009760: 7E4603A7
	v_cvt_pk_bf16_f32 v147, v34, v35                           // 000000009764: D2680093 00024722
	v_mov_b32_e32 v34, v168                                    // 00000000976C: 7E4403A8
	v_mov_b32_e32 v35, v169                                    // 000000009770: 7E4603A9
	v_cvt_pk_bf16_f32 v148, v34, v35                           // 000000009774: D2680094 00024722
	v_mov_b32_e32 v34, v170                                    // 00000000977C: 7E4403AA
	v_mov_b32_e32 v35, v171                                    // 000000009780: 7E4603AB
	v_cvt_pk_bf16_f32 v149, v34, v35                           // 000000009784: D2680095 00024722
	v_mov_b32_e32 v34, v172                                    // 00000000978C: 7E4403AC
	v_mov_b32_e32 v35, v173                                    // 000000009790: 7E4603AD
	v_cvt_pk_bf16_f32 v150, v34, v35                           // 000000009794: D2680096 00024722
	v_mov_b32_e32 v34, v174                                    // 00000000979C: 7E4403AE
	v_mov_b32_e32 v35, v175                                    // 0000000097A0: 7E4603AF
	v_cvt_pk_bf16_f32 v151, v34, v35                           // 0000000097A4: D2680097 00024722
	v_mov_b32_e32 v34, v176                                    // 0000000097AC: 7E4403B0
	v_mov_b32_e32 v35, v177                                    // 0000000097B0: 7E4603B1
	v_cvt_pk_bf16_f32 v152, v34, v35                           // 0000000097B4: D2680098 00024722
	v_mov_b32_e32 v34, v178                                    // 0000000097BC: 7E4403B2
	v_mov_b32_e32 v35, v179                                    // 0000000097C0: 7E4603B3
	v_cvt_pk_bf16_f32 v153, v34, v35                           // 0000000097C4: D2680099 00024722
	v_mov_b32_e32 v34, v180                                    // 0000000097CC: 7E4403B4
	v_mov_b32_e32 v35, v181                                    // 0000000097D0: 7E4603B5
	v_cvt_pk_bf16_f32 v154, v34, v35                           // 0000000097D4: D268009A 00024722
	v_mov_b32_e32 v34, v182                                    // 0000000097DC: 7E4403B6
	v_mov_b32_e32 v35, v183                                    // 0000000097E0: 7E4603B7
	v_cvt_pk_bf16_f32 v155, v34, v35                           // 0000000097E4: D268009B 00024722
	v_mov_b32_e32 v34, v184                                    // 0000000097EC: 7E4403B8
	v_mov_b32_e32 v35, v185                                    // 0000000097F0: 7E4603B9
	v_cvt_pk_bf16_f32 v156, v34, v35                           // 0000000097F4: D268009C 00024722
	v_mov_b32_e32 v34, v186                                    // 0000000097FC: 7E4403BA
	v_mov_b32_e32 v35, v187                                    // 000000009800: 7E4603BB
	v_cvt_pk_bf16_f32 v157, v34, v35                           // 000000009804: D268009D 00024722
	v_mov_b32_e32 v34, v188                                    // 00000000980C: 7E4403BC
	v_mov_b32_e32 v35, v189                                    // 000000009810: 7E4603BD
	v_cvt_pk_bf16_f32 v158, v34, v35                           // 000000009814: D268009E 00024722
	v_mov_b32_e32 v34, v190                                    // 00000000981C: 7E4403BE
	v_mov_b32_e32 v35, v191                                    // 000000009820: 7E4603BF
	v_cvt_pk_bf16_f32 v159, v34, v35                           // 000000009824: D268009F 00024722
	ds_write_b64 v24, v[128:129]                               // 00000000982C: D89A0000 00008018
	ds_write_b64 v24, v[130:131] offset:544                    // 000000009834: D89A0220 00008218
	ds_write_b64 v24, v[132:133] offset:1088                   // 00000000983C: D89A0440 00008418
	ds_write_b64 v24, v[134:135] offset:1632                   // 000000009844: D89A0660 00008618
	ds_write_b64 v24, v[136:137] offset:2176                   // 00000000984C: D89A0880 00008818
	ds_write_b64 v24, v[138:139] offset:2720                   // 000000009854: D89A0AA0 00008A18
	ds_write_b64 v24, v[140:141] offset:3264                   // 00000000985C: D89A0CC0 00008C18
	ds_write_b64 v24, v[142:143] offset:3808                   // 000000009864: D89A0EE0 00008E18
	ds_write_b64 v24, v[144:145] offset:4352                   // 00000000986C: D89A1100 00009018
	ds_write_b64 v24, v[146:147] offset:4896                   // 000000009874: D89A1320 00009218
	ds_write_b64 v24, v[148:149] offset:5440                   // 00000000987C: D89A1540 00009418
	ds_write_b64 v24, v[150:151] offset:5984                   // 000000009884: D89A1760 00009618
	ds_write_b64 v24, v[152:153] offset:6528                   // 00000000988C: D89A1980 00009818
	ds_write_b64 v24, v[154:155] offset:7072                   // 000000009894: D89A1BA0 00009A18
	ds_write_b64 v24, v[156:157] offset:7616                   // 00000000989C: D89A1DC0 00009C18
	ds_write_b64 v24, v[158:159] offset:8160                   // 0000000098A4: D89A1FE0 00009E18
	s_waitcnt lgkmcnt(0)                                       // 0000000098AC: BF8CC07F
	s_barrier                                                  // 0000000098B0: BF8A0000
	ds_read_b64 v[128:129], v22                                // 0000000098B4: D8EC0000 80000016
	ds_read_b64 v[130:131], v22 offset:256                     // 0000000098BC: D8EC0100 82000016
	ds_read_b64 v[132:133], v22 offset:4352                    // 0000000098C4: D8EC1100 84000016
	ds_read_b64 v[134:135], v22 offset:4608                    // 0000000098CC: D8EC1200 86000016
	ds_read_b64 v[136:137], v22 offset:64                      // 0000000098D4: D8EC0040 88000016
	ds_read_b64 v[138:139], v22 offset:320                     // 0000000098DC: D8EC0140 8A000016
	ds_read_b64 v[140:141], v22 offset:4416                    // 0000000098E4: D8EC1140 8C000016
	ds_read_b64 v[142:143], v22 offset:4672                    // 0000000098EC: D8EC1240 8E000016
	ds_read_b64 v[144:145], v22 offset:128                     // 0000000098F4: D8EC0080 90000016
	ds_read_b64 v[146:147], v22 offset:384                     // 0000000098FC: D8EC0180 92000016
	ds_read_b64 v[148:149], v22 offset:4480                    // 000000009904: D8EC1180 94000016
	ds_read_b64 v[150:151], v22 offset:4736                    // 00000000990C: D8EC1280 96000016
	ds_read_b64 v[152:153], v22 offset:192                     // 000000009914: D8EC00C0 98000016
	ds_read_b64 v[154:155], v22 offset:448                     // 00000000991C: D8EC01C0 9A000016
	ds_read_b64 v[156:157], v22 offset:4544                    // 000000009924: D8EC11C0 9C000016
	ds_read_b64 v[158:159], v22 offset:4800                    // 00000000992C: D8EC12C0 9E000016
	s_waitcnt lgkmcnt(0)                                       // 000000009934: BF8CC07F
	s_mov_b32 s70, s53                                         // 000000009938: BEC60035
	buffer_store_dwordx4 v[128:131], v6, s[40:43], 0 offen     // 00000000993C: E07C1000 800A8006
	buffer_store_dwordx4 v[132:135], v6, s[40:43], 0 offen offset:128// 000000009944: E07C1080 800A8406
	s_mul_i32 s60, 8, s70                                      // 00000000994C: 923C4688
	v_add_u32_e32 v6, s60, v6                                  // 000000009950: 680C0C3C
	buffer_store_dwordx4 v[136:139], v6, s[40:43], 0 offen     // 000000009954: E07C1000 800A8806
	buffer_store_dwordx4 v[140:143], v6, s[40:43], 0 offen offset:128// 00000000995C: E07C1080 800A8C06
	s_mul_i32 s60, 8, s70                                      // 000000009964: 923C4688
	v_add_u32_e32 v6, s60, v6                                  // 000000009968: 680C0C3C
	s_mul_i32 s60, 48, s70                                     // 00000000996C: 923C46B0
	v_add_u32_e32 v6, s60, v6                                  // 000000009970: 680C0C3C
	buffer_store_dwordx4 v[144:147], v6, s[40:43], 0 offen     // 000000009974: E07C1000 800A9006
	buffer_store_dwordx4 v[148:151], v6, s[40:43], 0 offen offset:128// 00000000997C: E07C1080 800A9406
	s_mul_i32 s60, 8, s70                                      // 000000009984: 923C4688
	v_add_u32_e32 v6, s60, v6                                  // 000000009988: 680C0C3C
	buffer_store_dwordx4 v[152:155], v6, s[40:43], 0 offen     // 00000000998C: E07C1000 800A9806
	buffer_store_dwordx4 v[156:159], v6, s[40:43], 0 offen offset:128// 000000009994: E07C1080 800A9C06
	s_mul_i32 s60, 8, s70                                      // 00000000999C: 923C4688
	v_add_u32_e32 v6, s60, v6                                  // 0000000099A0: 680C0C3C
	s_mul_i32 s60, 48, s70                                     // 0000000099A4: 923C46B0
	v_add_u32_e32 v6, s60, v6                                  // 0000000099A8: 680C0C3C
	s_barrier                                                  // 0000000099AC: BF8A0000
	s_cmp_ge_i32 2, s73                                        // 0000000099B0: BF034982
	s_cbranch_scc1 label_16FD                                  // 0000000099B4: BF850071
	v_mov_b32_e32 v34, v192                                    // 0000000099B8: 7E4403C0
	v_mov_b32_e32 v35, v193                                    // 0000000099BC: 7E4603C1
	v_cvt_pk_bf16_f32 v160, v34, v35                           // 0000000099C0: D26800A0 00024722
	v_mov_b32_e32 v34, v194                                    // 0000000099C8: 7E4403C2
	v_mov_b32_e32 v35, v195                                    // 0000000099CC: 7E4603C3
	v_cvt_pk_bf16_f32 v161, v34, v35                           // 0000000099D0: D26800A1 00024722
	v_mov_b32_e32 v34, v196                                    // 0000000099D8: 7E4403C4
	v_mov_b32_e32 v35, v197                                    // 0000000099DC: 7E4603C5
	v_cvt_pk_bf16_f32 v162, v34, v35                           // 0000000099E0: D26800A2 00024722
	v_mov_b32_e32 v34, v198                                    // 0000000099E8: 7E4403C6
	v_mov_b32_e32 v35, v199                                    // 0000000099EC: 7E4603C7
	v_cvt_pk_bf16_f32 v163, v34, v35                           // 0000000099F0: D26800A3 00024722
	v_mov_b32_e32 v34, v200                                    // 0000000099F8: 7E4403C8
	v_mov_b32_e32 v35, v201                                    // 0000000099FC: 7E4603C9
	v_cvt_pk_bf16_f32 v164, v34, v35                           // 000000009A00: D26800A4 00024722
	v_mov_b32_e32 v34, v202                                    // 000000009A08: 7E4403CA
	v_mov_b32_e32 v35, v203                                    // 000000009A0C: 7E4603CB
	v_cvt_pk_bf16_f32 v165, v34, v35                           // 000000009A10: D26800A5 00024722
	v_mov_b32_e32 v34, v204                                    // 000000009A18: 7E4403CC
	v_mov_b32_e32 v35, v205                                    // 000000009A1C: 7E4603CD
	v_cvt_pk_bf16_f32 v166, v34, v35                           // 000000009A20: D26800A6 00024722
	v_mov_b32_e32 v34, v206                                    // 000000009A28: 7E4403CE
	v_mov_b32_e32 v35, v207                                    // 000000009A2C: 7E4603CF
	v_cvt_pk_bf16_f32 v167, v34, v35                           // 000000009A30: D26800A7 00024722
	v_mov_b32_e32 v34, v208                                    // 000000009A38: 7E4403D0
	v_mov_b32_e32 v35, v209                                    // 000000009A3C: 7E4603D1
	v_cvt_pk_bf16_f32 v168, v34, v35                           // 000000009A40: D26800A8 00024722
	v_mov_b32_e32 v34, v210                                    // 000000009A48: 7E4403D2
	v_mov_b32_e32 v35, v211                                    // 000000009A4C: 7E4603D3
	v_cvt_pk_bf16_f32 v169, v34, v35                           // 000000009A50: D26800A9 00024722
	v_mov_b32_e32 v34, v212                                    // 000000009A58: 7E4403D4
	v_mov_b32_e32 v35, v213                                    // 000000009A5C: 7E4603D5
	v_cvt_pk_bf16_f32 v170, v34, v35                           // 000000009A60: D26800AA 00024722
	v_mov_b32_e32 v34, v214                                    // 000000009A68: 7E4403D6
	v_mov_b32_e32 v35, v215                                    // 000000009A6C: 7E4603D7
	v_cvt_pk_bf16_f32 v171, v34, v35                           // 000000009A70: D26800AB 00024722
	v_mov_b32_e32 v34, v216                                    // 000000009A78: 7E4403D8
	v_mov_b32_e32 v35, v217                                    // 000000009A7C: 7E4603D9
	v_cvt_pk_bf16_f32 v172, v34, v35                           // 000000009A80: D26800AC 00024722
	v_mov_b32_e32 v34, v218                                    // 000000009A88: 7E4403DA
	v_mov_b32_e32 v35, v219                                    // 000000009A8C: 7E4603DB
	v_cvt_pk_bf16_f32 v173, v34, v35                           // 000000009A90: D26800AD 00024722
	v_mov_b32_e32 v34, v220                                    // 000000009A98: 7E4403DC
	v_mov_b32_e32 v35, v221                                    // 000000009A9C: 7E4603DD
	v_cvt_pk_bf16_f32 v174, v34, v35                           // 000000009AA0: D26800AE 00024722
	v_mov_b32_e32 v34, v222                                    // 000000009AA8: 7E4403DE
	v_mov_b32_e32 v35, v223                                    // 000000009AAC: 7E4603DF
	v_cvt_pk_bf16_f32 v175, v34, v35                           // 000000009AB0: D26800AF 00024722
	ds_write_b64 v25, v[160:161] offset:52224                  // 000000009AB8: D89ACC00 0000A019
	ds_write_b64 v25, v[162:163] offset:52800                  // 000000009AC0: D89ACE40 0000A219
	ds_write_b64 v25, v[164:165] offset:53376                  // 000000009AC8: D89AD080 0000A419
	ds_write_b64 v25, v[166:167] offset:53952                  // 000000009AD0: D89AD2C0 0000A619
	ds_write_b64 v25, v[168:169] offset:54528                  // 000000009AD8: D89AD500 0000A819
	ds_write_b64 v25, v[170:171] offset:55104                  // 000000009AE0: D89AD740 0000AA19
	ds_write_b64 v25, v[172:173] offset:55680                  // 000000009AE8: D89AD980 0000AC19
	ds_write_b64 v25, v[174:175] offset:56256                  // 000000009AF0: D89ADBC0 0000AE19
	s_waitcnt lgkmcnt(0)                                       // 000000009AF8: BF8CC07F
	s_barrier                                                  // 000000009AFC: BF8A0000
	ds_read_b64 v[160:161], v23 offset:52224                   // 000000009B00: D8ECCC00 A0000017
	ds_read_b64 v[162:163], v23 offset:52352                   // 000000009B08: D8ECCC80 A2000017
	ds_read_b64 v[164:165], v23 offset:54528                   // 000000009B10: D8ECD500 A4000017
	ds_read_b64 v[166:167], v23 offset:54656                   // 000000009B18: D8ECD580 A6000017
	ds_read_b64 v[168:169], v23 offset:52288                   // 000000009B20: D8ECCC40 A8000017
	ds_read_b64 v[170:171], v23 offset:52416                   // 000000009B28: D8ECCCC0 AA000017
	ds_read_b64 v[172:173], v23 offset:54592                   // 000000009B30: D8ECD540 AC000017
	ds_read_b64 v[174:175], v23 offset:54720                   // 000000009B38: D8ECD5C0 AE000017
	s_waitcnt lgkmcnt(0)                                       // 000000009B40: BF8CC07F
	s_mov_b32 s70, s53                                         // 000000009B44: BEC60035
	buffer_store_dwordx4 v[160:163], v6, s[40:43], 0 offen     // 000000009B48: E07C1000 800AA006
	buffer_store_dwordx4 v[164:167], v6, s[40:43], 0 offen offset:128// 000000009B50: E07C1080 800AA406
	s_mul_i32 s60, 8, s70                                      // 000000009B58: 923C4688
	v_add_u32_e32 v6, s60, v6                                  // 000000009B5C: 680C0C3C
	buffer_store_dwordx4 v[168:171], v6, s[40:43], 0 offen     // 000000009B60: E07C1000 800AA806
	buffer_store_dwordx4 v[172:175], v6, s[40:43], 0 offen offset:128// 000000009B68: E07C1080 800AAC06
	s_mul_i32 s60, 8, s70                                      // 000000009B70: 923C4688
	v_add_u32_e32 v6, s60, v6                                  // 000000009B74: 680C0C3C
	s_barrier                                                  // 000000009B78: BF8A0000

0000000000009b7c <label_16FD>:
	v_accvgpr_read_b32 v34, a112                               // 000000009B7C: D3D84022 18000170
	v_accvgpr_read_b32 v35, a113                               // 000000009B84: D3D84023 18000171
	v_mul_f32_e32 v34, s47, v34                                // 000000009B8C: 0A44442F
	v_mul_f32_e32 v35, s47, v35                                // 000000009B90: 0A46462F
	v_cvt_pk_bf16_f32 v128, v34, v35                           // 000000009B94: D2680080 00024722
	v_accvgpr_read_b32 v34, a114                               // 000000009B9C: D3D84022 18000172
	v_accvgpr_read_b32 v35, a115                               // 000000009BA4: D3D84023 18000173
	v_mul_f32_e32 v34, s47, v34                                // 000000009BAC: 0A44442F
	v_mul_f32_e32 v35, s47, v35                                // 000000009BB0: 0A46462F
	v_cvt_pk_bf16_f32 v129, v34, v35                           // 000000009BB4: D2680081 00024722
	v_accvgpr_read_b32 v34, a116                               // 000000009BBC: D3D84022 18000174
	v_accvgpr_read_b32 v35, a117                               // 000000009BC4: D3D84023 18000175
	v_mul_f32_e32 v34, s47, v34                                // 000000009BCC: 0A44442F
	v_mul_f32_e32 v35, s47, v35                                // 000000009BD0: 0A46462F
	v_cvt_pk_bf16_f32 v130, v34, v35                           // 000000009BD4: D2680082 00024722
	v_accvgpr_read_b32 v34, a118                               // 000000009BDC: D3D84022 18000176
	v_accvgpr_read_b32 v35, a119                               // 000000009BE4: D3D84023 18000177
	v_mul_f32_e32 v34, s47, v34                                // 000000009BEC: 0A44442F
	v_mul_f32_e32 v35, s47, v35                                // 000000009BF0: 0A46462F
	v_cvt_pk_bf16_f32 v131, v34, v35                           // 000000009BF4: D2680083 00024722
	v_accvgpr_read_b32 v34, a120                               // 000000009BFC: D3D84022 18000178
	v_accvgpr_read_b32 v35, a121                               // 000000009C04: D3D84023 18000179
	v_mul_f32_e32 v34, s47, v34                                // 000000009C0C: 0A44442F
	v_mul_f32_e32 v35, s47, v35                                // 000000009C10: 0A46462F
	v_cvt_pk_bf16_f32 v132, v34, v35                           // 000000009C14: D2680084 00024722
	v_accvgpr_read_b32 v34, a122                               // 000000009C1C: D3D84022 1800017A
	v_accvgpr_read_b32 v35, a123                               // 000000009C24: D3D84023 1800017B
	v_mul_f32_e32 v34, s47, v34                                // 000000009C2C: 0A44442F
	v_mul_f32_e32 v35, s47, v35                                // 000000009C30: 0A46462F
	v_cvt_pk_bf16_f32 v133, v34, v35                           // 000000009C34: D2680085 00024722
	v_accvgpr_read_b32 v34, a124                               // 000000009C3C: D3D84022 1800017C
	v_accvgpr_read_b32 v35, a125                               // 000000009C44: D3D84023 1800017D
	v_mul_f32_e32 v34, s47, v34                                // 000000009C4C: 0A44442F
	v_mul_f32_e32 v35, s47, v35                                // 000000009C50: 0A46462F
	v_cvt_pk_bf16_f32 v134, v34, v35                           // 000000009C54: D2680086 00024722
	v_accvgpr_read_b32 v34, a126                               // 000000009C5C: D3D84022 1800017E
	v_accvgpr_read_b32 v35, a127                               // 000000009C64: D3D84023 1800017F
	v_mul_f32_e32 v34, s47, v34                                // 000000009C6C: 0A44442F
	v_mul_f32_e32 v35, s47, v35                                // 000000009C70: 0A46462F
	v_cvt_pk_bf16_f32 v135, v34, v35                           // 000000009C74: D2680087 00024722
	v_accvgpr_read_b32 v34, a128                               // 000000009C7C: D3D84022 18000180
	v_accvgpr_read_b32 v35, a129                               // 000000009C84: D3D84023 18000181
	v_mul_f32_e32 v34, s47, v34                                // 000000009C8C: 0A44442F
	v_mul_f32_e32 v35, s47, v35                                // 000000009C90: 0A46462F
	v_cvt_pk_bf16_f32 v136, v34, v35                           // 000000009C94: D2680088 00024722
	v_accvgpr_read_b32 v34, a130                               // 000000009C9C: D3D84022 18000182
	v_accvgpr_read_b32 v35, a131                               // 000000009CA4: D3D84023 18000183
	v_mul_f32_e32 v34, s47, v34                                // 000000009CAC: 0A44442F
	v_mul_f32_e32 v35, s47, v35                                // 000000009CB0: 0A46462F
	v_cvt_pk_bf16_f32 v137, v34, v35                           // 000000009CB4: D2680089 00024722
	v_accvgpr_read_b32 v34, a132                               // 000000009CBC: D3D84022 18000184
	v_accvgpr_read_b32 v35, a133                               // 000000009CC4: D3D84023 18000185
	v_mul_f32_e32 v34, s47, v34                                // 000000009CCC: 0A44442F
	v_mul_f32_e32 v35, s47, v35                                // 000000009CD0: 0A46462F
	v_cvt_pk_bf16_f32 v138, v34, v35                           // 000000009CD4: D268008A 00024722
	v_accvgpr_read_b32 v34, a134                               // 000000009CDC: D3D84022 18000186
	v_accvgpr_read_b32 v35, a135                               // 000000009CE4: D3D84023 18000187
	v_mul_f32_e32 v34, s47, v34                                // 000000009CEC: 0A44442F
	v_mul_f32_e32 v35, s47, v35                                // 000000009CF0: 0A46462F
	v_cvt_pk_bf16_f32 v139, v34, v35                           // 000000009CF4: D268008B 00024722
	v_accvgpr_read_b32 v34, a136                               // 000000009CFC: D3D84022 18000188
	v_accvgpr_read_b32 v35, a137                               // 000000009D04: D3D84023 18000189
	v_mul_f32_e32 v34, s47, v34                                // 000000009D0C: 0A44442F
	v_mul_f32_e32 v35, s47, v35                                // 000000009D10: 0A46462F
	v_cvt_pk_bf16_f32 v140, v34, v35                           // 000000009D14: D268008C 00024722
	v_accvgpr_read_b32 v34, a138                               // 000000009D1C: D3D84022 1800018A
	v_accvgpr_read_b32 v35, a139                               // 000000009D24: D3D84023 1800018B
	v_mul_f32_e32 v34, s47, v34                                // 000000009D2C: 0A44442F
	v_mul_f32_e32 v35, s47, v35                                // 000000009D30: 0A46462F
	v_cvt_pk_bf16_f32 v141, v34, v35                           // 000000009D34: D268008D 00024722
	v_accvgpr_read_b32 v34, a140                               // 000000009D3C: D3D84022 1800018C
	v_accvgpr_read_b32 v35, a141                               // 000000009D44: D3D84023 1800018D
	v_mul_f32_e32 v34, s47, v34                                // 000000009D4C: 0A44442F
	v_mul_f32_e32 v35, s47, v35                                // 000000009D50: 0A46462F
	v_cvt_pk_bf16_f32 v142, v34, v35                           // 000000009D54: D268008E 00024722
	v_accvgpr_read_b32 v34, a142                               // 000000009D5C: D3D84022 1800018E
	v_accvgpr_read_b32 v35, a143                               // 000000009D64: D3D84023 1800018F
	v_mul_f32_e32 v34, s47, v34                                // 000000009D6C: 0A44442F
	v_mul_f32_e32 v35, s47, v35                                // 000000009D70: 0A46462F
	v_cvt_pk_bf16_f32 v143, v34, v35                           // 000000009D74: D268008F 00024722
	v_accvgpr_read_b32 v34, a144                               // 000000009D7C: D3D84022 18000190
	v_accvgpr_read_b32 v35, a145                               // 000000009D84: D3D84023 18000191
	v_mul_f32_e32 v34, s47, v34                                // 000000009D8C: 0A44442F
	v_mul_f32_e32 v35, s47, v35                                // 000000009D90: 0A46462F
	v_cvt_pk_bf16_f32 v144, v34, v35                           // 000000009D94: D2680090 00024722
	v_accvgpr_read_b32 v34, a146                               // 000000009D9C: D3D84022 18000192
	v_accvgpr_read_b32 v35, a147                               // 000000009DA4: D3D84023 18000193
	v_mul_f32_e32 v34, s47, v34                                // 000000009DAC: 0A44442F
	v_mul_f32_e32 v35, s47, v35                                // 000000009DB0: 0A46462F
	v_cvt_pk_bf16_f32 v145, v34, v35                           // 000000009DB4: D2680091 00024722
	v_accvgpr_read_b32 v34, a148                               // 000000009DBC: D3D84022 18000194
	v_accvgpr_read_b32 v35, a149                               // 000000009DC4: D3D84023 18000195
	v_mul_f32_e32 v34, s47, v34                                // 000000009DCC: 0A44442F
	v_mul_f32_e32 v35, s47, v35                                // 000000009DD0: 0A46462F
	v_cvt_pk_bf16_f32 v146, v34, v35                           // 000000009DD4: D2680092 00024722
	v_accvgpr_read_b32 v34, a150                               // 000000009DDC: D3D84022 18000196
	v_accvgpr_read_b32 v35, a151                               // 000000009DE4: D3D84023 18000197
	v_mul_f32_e32 v34, s47, v34                                // 000000009DEC: 0A44442F
	v_mul_f32_e32 v35, s47, v35                                // 000000009DF0: 0A46462F
	v_cvt_pk_bf16_f32 v147, v34, v35                           // 000000009DF4: D2680093 00024722
	v_accvgpr_read_b32 v34, a152                               // 000000009DFC: D3D84022 18000198
	v_accvgpr_read_b32 v35, a153                               // 000000009E04: D3D84023 18000199
	v_mul_f32_e32 v34, s47, v34                                // 000000009E0C: 0A44442F
	v_mul_f32_e32 v35, s47, v35                                // 000000009E10: 0A46462F
	v_cvt_pk_bf16_f32 v148, v34, v35                           // 000000009E14: D2680094 00024722
	v_accvgpr_read_b32 v34, a154                               // 000000009E1C: D3D84022 1800019A
	v_accvgpr_read_b32 v35, a155                               // 000000009E24: D3D84023 1800019B
	v_mul_f32_e32 v34, s47, v34                                // 000000009E2C: 0A44442F
	v_mul_f32_e32 v35, s47, v35                                // 000000009E30: 0A46462F
	v_cvt_pk_bf16_f32 v149, v34, v35                           // 000000009E34: D2680095 00024722
	v_accvgpr_read_b32 v34, a156                               // 000000009E3C: D3D84022 1800019C
	v_accvgpr_read_b32 v35, a157                               // 000000009E44: D3D84023 1800019D
	v_mul_f32_e32 v34, s47, v34                                // 000000009E4C: 0A44442F
	v_mul_f32_e32 v35, s47, v35                                // 000000009E50: 0A46462F
	v_cvt_pk_bf16_f32 v150, v34, v35                           // 000000009E54: D2680096 00024722
	v_accvgpr_read_b32 v34, a158                               // 000000009E5C: D3D84022 1800019E
	v_accvgpr_read_b32 v35, a159                               // 000000009E64: D3D84023 1800019F
	v_mul_f32_e32 v34, s47, v34                                // 000000009E6C: 0A44442F
	v_mul_f32_e32 v35, s47, v35                                // 000000009E70: 0A46462F
	v_cvt_pk_bf16_f32 v151, v34, v35                           // 000000009E74: D2680097 00024722
	v_accvgpr_read_b32 v34, a160                               // 000000009E7C: D3D84022 180001A0
	v_accvgpr_read_b32 v35, a161                               // 000000009E84: D3D84023 180001A1
	v_mul_f32_e32 v34, s47, v34                                // 000000009E8C: 0A44442F
	v_mul_f32_e32 v35, s47, v35                                // 000000009E90: 0A46462F
	v_cvt_pk_bf16_f32 v152, v34, v35                           // 000000009E94: D2680098 00024722
	v_accvgpr_read_b32 v34, a162                               // 000000009E9C: D3D84022 180001A2
	v_accvgpr_read_b32 v35, a163                               // 000000009EA4: D3D84023 180001A3
	v_mul_f32_e32 v34, s47, v34                                // 000000009EAC: 0A44442F
	v_mul_f32_e32 v35, s47, v35                                // 000000009EB0: 0A46462F
	v_cvt_pk_bf16_f32 v153, v34, v35                           // 000000009EB4: D2680099 00024722
	v_accvgpr_read_b32 v34, a164                               // 000000009EBC: D3D84022 180001A4
	v_accvgpr_read_b32 v35, a165                               // 000000009EC4: D3D84023 180001A5
	v_mul_f32_e32 v34, s47, v34                                // 000000009ECC: 0A44442F
	v_mul_f32_e32 v35, s47, v35                                // 000000009ED0: 0A46462F
	v_cvt_pk_bf16_f32 v154, v34, v35                           // 000000009ED4: D268009A 00024722
	v_accvgpr_read_b32 v34, a166                               // 000000009EDC: D3D84022 180001A6
	v_accvgpr_read_b32 v35, a167                               // 000000009EE4: D3D84023 180001A7
	v_mul_f32_e32 v34, s47, v34                                // 000000009EEC: 0A44442F
	v_mul_f32_e32 v35, s47, v35                                // 000000009EF0: 0A46462F
	v_cvt_pk_bf16_f32 v155, v34, v35                           // 000000009EF4: D268009B 00024722
	v_accvgpr_read_b32 v34, a168                               // 000000009EFC: D3D84022 180001A8
	v_accvgpr_read_b32 v35, a169                               // 000000009F04: D3D84023 180001A9
	v_mul_f32_e32 v34, s47, v34                                // 000000009F0C: 0A44442F
	v_mul_f32_e32 v35, s47, v35                                // 000000009F10: 0A46462F
	v_cvt_pk_bf16_f32 v156, v34, v35                           // 000000009F14: D268009C 00024722
	v_accvgpr_read_b32 v34, a170                               // 000000009F1C: D3D84022 180001AA
	v_accvgpr_read_b32 v35, a171                               // 000000009F24: D3D84023 180001AB
	v_mul_f32_e32 v34, s47, v34                                // 000000009F2C: 0A44442F
	v_mul_f32_e32 v35, s47, v35                                // 000000009F30: 0A46462F
	v_cvt_pk_bf16_f32 v157, v34, v35                           // 000000009F34: D268009D 00024722
	v_accvgpr_read_b32 v34, a172                               // 000000009F3C: D3D84022 180001AC
	v_accvgpr_read_b32 v35, a173                               // 000000009F44: D3D84023 180001AD
	v_mul_f32_e32 v34, s47, v34                                // 000000009F4C: 0A44442F
	v_mul_f32_e32 v35, s47, v35                                // 000000009F50: 0A46462F
	v_cvt_pk_bf16_f32 v158, v34, v35                           // 000000009F54: D268009E 00024722
	v_accvgpr_read_b32 v34, a174                               // 000000009F5C: D3D84022 180001AE
	v_accvgpr_read_b32 v35, a175                               // 000000009F64: D3D84023 180001AF
	v_mul_f32_e32 v34, s47, v34                                // 000000009F6C: 0A44442F
	v_mul_f32_e32 v35, s47, v35                                // 000000009F70: 0A46462F
	v_cvt_pk_bf16_f32 v159, v34, v35                           // 000000009F74: D268009F 00024722
	v_accvgpr_read_b32 v34, a176                               // 000000009F7C: D3D84022 180001B0
	v_accvgpr_read_b32 v35, a177                               // 000000009F84: D3D84023 180001B1
	v_mul_f32_e32 v34, s47, v34                                // 000000009F8C: 0A44442F
	v_mul_f32_e32 v35, s47, v35                                // 000000009F90: 0A46462F
	v_cvt_pk_bf16_f32 v160, v34, v35                           // 000000009F94: D26800A0 00024722
	v_accvgpr_read_b32 v34, a178                               // 000000009F9C: D3D84022 180001B2
	v_accvgpr_read_b32 v35, a179                               // 000000009FA4: D3D84023 180001B3
	v_mul_f32_e32 v34, s47, v34                                // 000000009FAC: 0A44442F
	v_mul_f32_e32 v35, s47, v35                                // 000000009FB0: 0A46462F
	v_cvt_pk_bf16_f32 v161, v34, v35                           // 000000009FB4: D26800A1 00024722
	v_accvgpr_read_b32 v34, a180                               // 000000009FBC: D3D84022 180001B4
	v_accvgpr_read_b32 v35, a181                               // 000000009FC4: D3D84023 180001B5
	v_mul_f32_e32 v34, s47, v34                                // 000000009FCC: 0A44442F
	v_mul_f32_e32 v35, s47, v35                                // 000000009FD0: 0A46462F
	v_cvt_pk_bf16_f32 v162, v34, v35                           // 000000009FD4: D26800A2 00024722
	v_accvgpr_read_b32 v34, a182                               // 000000009FDC: D3D84022 180001B6
	v_accvgpr_read_b32 v35, a183                               // 000000009FE4: D3D84023 180001B7
	v_mul_f32_e32 v34, s47, v34                                // 000000009FEC: 0A44442F
	v_mul_f32_e32 v35, s47, v35                                // 000000009FF0: 0A46462F
	v_cvt_pk_bf16_f32 v163, v34, v35                           // 000000009FF4: D26800A3 00024722
	v_accvgpr_read_b32 v34, a184                               // 000000009FFC: D3D84022 180001B8
	v_accvgpr_read_b32 v35, a185                               // 00000000A004: D3D84023 180001B9
	v_mul_f32_e32 v34, s47, v34                                // 00000000A00C: 0A44442F
	v_mul_f32_e32 v35, s47, v35                                // 00000000A010: 0A46462F
	v_cvt_pk_bf16_f32 v164, v34, v35                           // 00000000A014: D26800A4 00024722
	v_accvgpr_read_b32 v34, a186                               // 00000000A01C: D3D84022 180001BA
	v_accvgpr_read_b32 v35, a187                               // 00000000A024: D3D84023 180001BB
	v_mul_f32_e32 v34, s47, v34                                // 00000000A02C: 0A44442F
	v_mul_f32_e32 v35, s47, v35                                // 00000000A030: 0A46462F
	v_cvt_pk_bf16_f32 v165, v34, v35                           // 00000000A034: D26800A5 00024722
	v_accvgpr_read_b32 v34, a188                               // 00000000A03C: D3D84022 180001BC
	v_accvgpr_read_b32 v35, a189                               // 00000000A044: D3D84023 180001BD
	v_mul_f32_e32 v34, s47, v34                                // 00000000A04C: 0A44442F
	v_mul_f32_e32 v35, s47, v35                                // 00000000A050: 0A46462F
	v_cvt_pk_bf16_f32 v166, v34, v35                           // 00000000A054: D26800A6 00024722
	v_accvgpr_read_b32 v34, a190                               // 00000000A05C: D3D84022 180001BE
	v_accvgpr_read_b32 v35, a191                               // 00000000A064: D3D84023 180001BF
	v_mul_f32_e32 v34, s47, v34                                // 00000000A06C: 0A44442F
	v_mul_f32_e32 v35, s47, v35                                // 00000000A070: 0A46462F
	v_cvt_pk_bf16_f32 v167, v34, v35                           // 00000000A074: D26800A7 00024722
	v_accvgpr_read_b32 v34, a192                               // 00000000A07C: D3D84022 180001C0
	v_accvgpr_read_b32 v35, a193                               // 00000000A084: D3D84023 180001C1
	v_mul_f32_e32 v34, s47, v34                                // 00000000A08C: 0A44442F
	v_mul_f32_e32 v35, s47, v35                                // 00000000A090: 0A46462F
	v_cvt_pk_bf16_f32 v168, v34, v35                           // 00000000A094: D26800A8 00024722
	v_accvgpr_read_b32 v34, a194                               // 00000000A09C: D3D84022 180001C2
	v_accvgpr_read_b32 v35, a195                               // 00000000A0A4: D3D84023 180001C3
	v_mul_f32_e32 v34, s47, v34                                // 00000000A0AC: 0A44442F
	v_mul_f32_e32 v35, s47, v35                                // 00000000A0B0: 0A46462F
	v_cvt_pk_bf16_f32 v169, v34, v35                           // 00000000A0B4: D26800A9 00024722
	v_accvgpr_read_b32 v34, a196                               // 00000000A0BC: D3D84022 180001C4
	v_accvgpr_read_b32 v35, a197                               // 00000000A0C4: D3D84023 180001C5
	v_mul_f32_e32 v34, s47, v34                                // 00000000A0CC: 0A44442F
	v_mul_f32_e32 v35, s47, v35                                // 00000000A0D0: 0A46462F
	v_cvt_pk_bf16_f32 v170, v34, v35                           // 00000000A0D4: D26800AA 00024722
	v_accvgpr_read_b32 v34, a198                               // 00000000A0DC: D3D84022 180001C6
	v_accvgpr_read_b32 v35, a199                               // 00000000A0E4: D3D84023 180001C7
	v_mul_f32_e32 v34, s47, v34                                // 00000000A0EC: 0A44442F
	v_mul_f32_e32 v35, s47, v35                                // 00000000A0F0: 0A46462F
	v_cvt_pk_bf16_f32 v171, v34, v35                           // 00000000A0F4: D26800AB 00024722
	v_accvgpr_read_b32 v34, a200                               // 00000000A0FC: D3D84022 180001C8
	v_accvgpr_read_b32 v35, a201                               // 00000000A104: D3D84023 180001C9
	v_mul_f32_e32 v34, s47, v34                                // 00000000A10C: 0A44442F
	v_mul_f32_e32 v35, s47, v35                                // 00000000A110: 0A46462F
	v_cvt_pk_bf16_f32 v172, v34, v35                           // 00000000A114: D26800AC 00024722
	v_accvgpr_read_b32 v34, a202                               // 00000000A11C: D3D84022 180001CA
	v_accvgpr_read_b32 v35, a203                               // 00000000A124: D3D84023 180001CB
	v_mul_f32_e32 v34, s47, v34                                // 00000000A12C: 0A44442F
	v_mul_f32_e32 v35, s47, v35                                // 00000000A130: 0A46462F
	v_cvt_pk_bf16_f32 v173, v34, v35                           // 00000000A134: D26800AD 00024722
	v_accvgpr_read_b32 v34, a204                               // 00000000A13C: D3D84022 180001CC
	v_accvgpr_read_b32 v35, a205                               // 00000000A144: D3D84023 180001CD
	v_mul_f32_e32 v34, s47, v34                                // 00000000A14C: 0A44442F
	v_mul_f32_e32 v35, s47, v35                                // 00000000A150: 0A46462F
	v_cvt_pk_bf16_f32 v174, v34, v35                           // 00000000A154: D26800AE 00024722
	v_accvgpr_read_b32 v34, a206                               // 00000000A15C: D3D84022 180001CE
	v_accvgpr_read_b32 v35, a207                               // 00000000A164: D3D84023 180001CF
	v_mul_f32_e32 v34, s47, v34                                // 00000000A16C: 0A44442F
	v_mul_f32_e32 v35, s47, v35                                // 00000000A170: 0A46462F
	v_cvt_pk_bf16_f32 v175, v34, v35                           // 00000000A174: D26800AF 00024722
	ds_write_b64 v24, v[128:129]                               // 00000000A17C: D89A0000 00008018
	ds_write_b64 v24, v[130:131] offset:544                    // 00000000A184: D89A0220 00008218
	ds_write_b64 v24, v[132:133] offset:1088                   // 00000000A18C: D89A0440 00008418
	ds_write_b64 v24, v[134:135] offset:1632                   // 00000000A194: D89A0660 00008618
	ds_write_b64 v24, v[136:137] offset:2176                   // 00000000A19C: D89A0880 00008818
	ds_write_b64 v24, v[138:139] offset:2720                   // 00000000A1A4: D89A0AA0 00008A18
	ds_write_b64 v24, v[140:141] offset:3264                   // 00000000A1AC: D89A0CC0 00008C18
	ds_write_b64 v24, v[142:143] offset:3808                   // 00000000A1B4: D89A0EE0 00008E18
	ds_write_b64 v24, v[144:145] offset:4352                   // 00000000A1BC: D89A1100 00009018
	ds_write_b64 v24, v[146:147] offset:4896                   // 00000000A1C4: D89A1320 00009218
	ds_write_b64 v24, v[148:149] offset:5440                   // 00000000A1CC: D89A1540 00009418
	ds_write_b64 v24, v[150:151] offset:5984                   // 00000000A1D4: D89A1760 00009618
	ds_write_b64 v24, v[152:153] offset:6528                   // 00000000A1DC: D89A1980 00009818
	ds_write_b64 v24, v[154:155] offset:7072                   // 00000000A1E4: D89A1BA0 00009A18
	ds_write_b64 v24, v[156:157] offset:7616                   // 00000000A1EC: D89A1DC0 00009C18
	ds_write_b64 v24, v[158:159] offset:8160                   // 00000000A1F4: D89A1FE0 00009E18
	ds_write_b64 v24, v[160:161] offset:8704                   // 00000000A1FC: D89A2200 0000A018
	ds_write_b64 v24, v[162:163] offset:9248                   // 00000000A204: D89A2420 0000A218
	ds_write_b64 v24, v[164:165] offset:9792                   // 00000000A20C: D89A2640 0000A418
	ds_write_b64 v24, v[166:167] offset:10336                  // 00000000A214: D89A2860 0000A618
	ds_write_b64 v24, v[168:169] offset:10880                  // 00000000A21C: D89A2A80 0000A818
	ds_write_b64 v24, v[170:171] offset:11424                  // 00000000A224: D89A2CA0 0000AA18
	ds_write_b64 v24, v[172:173] offset:11968                  // 00000000A22C: D89A2EC0 0000AC18
	ds_write_b64 v24, v[174:175] offset:12512                  // 00000000A234: D89A30E0 0000AE18
	s_waitcnt lgkmcnt(0)                                       // 00000000A23C: BF8CC07F
	s_barrier                                                  // 00000000A240: BF8A0000
	ds_read_b64 v[128:129], v22                                // 00000000A244: D8EC0000 80000016
	ds_read_b64 v[130:131], v22 offset:256                     // 00000000A24C: D8EC0100 82000016
	ds_read_b64 v[132:133], v22 offset:4352                    // 00000000A254: D8EC1100 84000016
	ds_read_b64 v[134:135], v22 offset:4608                    // 00000000A25C: D8EC1200 86000016
	ds_read_b64 v[136:137], v22 offset:8704                    // 00000000A264: D8EC2200 88000016
	ds_read_b64 v[138:139], v22 offset:8960                    // 00000000A26C: D8EC2300 8A000016
	ds_read_b64 v[140:141], v22 offset:64                      // 00000000A274: D8EC0040 8C000016
	ds_read_b64 v[142:143], v22 offset:320                     // 00000000A27C: D8EC0140 8E000016
	ds_read_b64 v[144:145], v22 offset:4416                    // 00000000A284: D8EC1140 90000016
	ds_read_b64 v[146:147], v22 offset:4672                    // 00000000A28C: D8EC1240 92000016
	ds_read_b64 v[148:149], v22 offset:8768                    // 00000000A294: D8EC2240 94000016
	ds_read_b64 v[150:151], v22 offset:9024                    // 00000000A29C: D8EC2340 96000016
	ds_read_b64 v[152:153], v22 offset:128                     // 00000000A2A4: D8EC0080 98000016
	ds_read_b64 v[154:155], v22 offset:384                     // 00000000A2AC: D8EC0180 9A000016
	ds_read_b64 v[156:157], v22 offset:4480                    // 00000000A2B4: D8EC1180 9C000016
	ds_read_b64 v[158:159], v22 offset:4736                    // 00000000A2BC: D8EC1280 9E000016
	ds_read_b64 v[160:161], v22 offset:8832                    // 00000000A2C4: D8EC2280 A0000016
	ds_read_b64 v[162:163], v22 offset:9088                    // 00000000A2CC: D8EC2380 A2000016
	ds_read_b64 v[164:165], v22 offset:192                     // 00000000A2D4: D8EC00C0 A4000016
	ds_read_b64 v[166:167], v22 offset:448                     // 00000000A2DC: D8EC01C0 A6000016
	ds_read_b64 v[168:169], v22 offset:4544                    // 00000000A2E4: D8EC11C0 A8000016
	ds_read_b64 v[170:171], v22 offset:4800                    // 00000000A2EC: D8EC12C0 AA000016
	ds_read_b64 v[172:173], v22 offset:8896                    // 00000000A2F4: D8EC22C0 AC000016
	ds_read_b64 v[174:175], v22 offset:9152                    // 00000000A2FC: D8EC23C0 AE000016
	s_waitcnt lgkmcnt(0)                                       // 00000000A304: BF8CC07F
	s_mov_b32 s70, s52                                         // 00000000A308: BEC60034
	buffer_store_dwordx4 v[128:131], v5, s[36:39], 0 offen     // 00000000A30C: E07C1000 80098005
	buffer_store_dwordx4 v[132:135], v5, s[36:39], 0 offen offset:128// 00000000A314: E07C1080 80098405
	buffer_store_dwordx4 v[136:139], v5, s[36:39], 0 offen offset:256// 00000000A31C: E07C1100 80098805
	s_mul_i32 s60, 8, s70                                      // 00000000A324: 923C4688
	v_add_u32_e32 v5, s60, v5                                  // 00000000A328: 680A0A3C
	buffer_store_dwordx4 v[140:143], v5, s[36:39], 0 offen     // 00000000A32C: E07C1000 80098C05
	buffer_store_dwordx4 v[144:147], v5, s[36:39], 0 offen offset:128// 00000000A334: E07C1080 80099005
	buffer_store_dwordx4 v[148:151], v5, s[36:39], 0 offen offset:256// 00000000A33C: E07C1100 80099405
	s_mul_i32 s60, 8, s70                                      // 00000000A344: 923C4688
	v_add_u32_e32 v5, s60, v5                                  // 00000000A348: 680A0A3C
	s_mul_i32 s60, 48, s70                                     // 00000000A34C: 923C46B0
	v_add_u32_e32 v5, s60, v5                                  // 00000000A350: 680A0A3C
	buffer_store_dwordx4 v[152:155], v5, s[36:39], 0 offen     // 00000000A354: E07C1000 80099805
	buffer_store_dwordx4 v[156:159], v5, s[36:39], 0 offen offset:128// 00000000A35C: E07C1080 80099C05
	buffer_store_dwordx4 v[160:163], v5, s[36:39], 0 offen offset:256// 00000000A364: E07C1100 8009A005
	s_mul_i32 s60, 8, s70                                      // 00000000A36C: 923C4688
	v_add_u32_e32 v5, s60, v5                                  // 00000000A370: 680A0A3C
	buffer_store_dwordx4 v[164:167], v5, s[36:39], 0 offen     // 00000000A374: E07C1000 8009A405
	buffer_store_dwordx4 v[168:171], v5, s[36:39], 0 offen offset:128// 00000000A37C: E07C1080 8009A805
	buffer_store_dwordx4 v[172:175], v5, s[36:39], 0 offen offset:256// 00000000A384: E07C1100 8009AC05
	s_mul_i32 s60, 8, s70                                      // 00000000A38C: 923C4688
	v_add_u32_e32 v5, s60, v5                                  // 00000000A390: 680A0A3C
	s_mul_i32 s60, 48, s70                                     // 00000000A394: 923C46B0
	v_add_u32_e32 v5, s60, v5                                  // 00000000A398: 680A0A3C
	s_cmp_ge_i32 2, s73                                        // 00000000A39C: BF034982
	s_cbranch_scc1 label_1A0B                                  // 00000000A3A0: BF850104
	v_accvgpr_read_b32 v34, a208                               // 00000000A3A4: D3D84022 180001D0
	v_accvgpr_read_b32 v35, a209                               // 00000000A3AC: D3D84023 180001D1
	v_mul_f32_e32 v34, s47, v34                                // 00000000A3B4: 0A44442F
	v_mul_f32_e32 v35, s47, v35                                // 00000000A3B8: 0A46462F
	v_cvt_pk_bf16_f32 v176, v34, v35                           // 00000000A3BC: D26800B0 00024722
	v_accvgpr_read_b32 v34, a210                               // 00000000A3C4: D3D84022 180001D2
	v_accvgpr_read_b32 v35, a211                               // 00000000A3CC: D3D84023 180001D3
	v_mul_f32_e32 v34, s47, v34                                // 00000000A3D4: 0A44442F
	v_mul_f32_e32 v35, s47, v35                                // 00000000A3D8: 0A46462F
	v_cvt_pk_bf16_f32 v177, v34, v35                           // 00000000A3DC: D26800B1 00024722
	v_accvgpr_read_b32 v34, a212                               // 00000000A3E4: D3D84022 180001D4
	v_accvgpr_read_b32 v35, a213                               // 00000000A3EC: D3D84023 180001D5
	v_mul_f32_e32 v34, s47, v34                                // 00000000A3F4: 0A44442F
	v_mul_f32_e32 v35, s47, v35                                // 00000000A3F8: 0A46462F
	v_cvt_pk_bf16_f32 v178, v34, v35                           // 00000000A3FC: D26800B2 00024722
	v_accvgpr_read_b32 v34, a214                               // 00000000A404: D3D84022 180001D6
	v_accvgpr_read_b32 v35, a215                               // 00000000A40C: D3D84023 180001D7
	v_mul_f32_e32 v34, s47, v34                                // 00000000A414: 0A44442F
	v_mul_f32_e32 v35, s47, v35                                // 00000000A418: 0A46462F
	v_cvt_pk_bf16_f32 v179, v34, v35                           // 00000000A41C: D26800B3 00024722
	v_accvgpr_read_b32 v34, a216                               // 00000000A424: D3D84022 180001D8
	v_accvgpr_read_b32 v35, a217                               // 00000000A42C: D3D84023 180001D9
	v_mul_f32_e32 v34, s47, v34                                // 00000000A434: 0A44442F
	v_mul_f32_e32 v35, s47, v35                                // 00000000A438: 0A46462F
	v_cvt_pk_bf16_f32 v180, v34, v35                           // 00000000A43C: D26800B4 00024722
	v_accvgpr_read_b32 v34, a218                               // 00000000A444: D3D84022 180001DA
	v_accvgpr_read_b32 v35, a219                               // 00000000A44C: D3D84023 180001DB
	v_mul_f32_e32 v34, s47, v34                                // 00000000A454: 0A44442F
	v_mul_f32_e32 v35, s47, v35                                // 00000000A458: 0A46462F
	v_cvt_pk_bf16_f32 v181, v34, v35                           // 00000000A45C: D26800B5 00024722
	v_accvgpr_read_b32 v34, a220                               // 00000000A464: D3D84022 180001DC
	v_accvgpr_read_b32 v35, a221                               // 00000000A46C: D3D84023 180001DD
	v_mul_f32_e32 v34, s47, v34                                // 00000000A474: 0A44442F
	v_mul_f32_e32 v35, s47, v35                                // 00000000A478: 0A46462F
	v_cvt_pk_bf16_f32 v182, v34, v35                           // 00000000A47C: D26800B6 00024722
	v_accvgpr_read_b32 v34, a222                               // 00000000A484: D3D84022 180001DE
	v_accvgpr_read_b32 v35, a223                               // 00000000A48C: D3D84023 180001DF
	v_mul_f32_e32 v34, s47, v34                                // 00000000A494: 0A44442F
	v_mul_f32_e32 v35, s47, v35                                // 00000000A498: 0A46462F
	v_cvt_pk_bf16_f32 v183, v34, v35                           // 00000000A49C: D26800B7 00024722
	v_accvgpr_read_b32 v34, a224                               // 00000000A4A4: D3D84022 180001E0
	v_accvgpr_read_b32 v35, a225                               // 00000000A4AC: D3D84023 180001E1
	v_mul_f32_e32 v34, s47, v34                                // 00000000A4B4: 0A44442F
	v_mul_f32_e32 v35, s47, v35                                // 00000000A4B8: 0A46462F
	v_cvt_pk_bf16_f32 v184, v34, v35                           // 00000000A4BC: D26800B8 00024722
	v_accvgpr_read_b32 v34, a226                               // 00000000A4C4: D3D84022 180001E2
	v_accvgpr_read_b32 v35, a227                               // 00000000A4CC: D3D84023 180001E3
	v_mul_f32_e32 v34, s47, v34                                // 00000000A4D4: 0A44442F
	v_mul_f32_e32 v35, s47, v35                                // 00000000A4D8: 0A46462F
	v_cvt_pk_bf16_f32 v185, v34, v35                           // 00000000A4DC: D26800B9 00024722
	v_accvgpr_read_b32 v34, a228                               // 00000000A4E4: D3D84022 180001E4
	v_accvgpr_read_b32 v35, a229                               // 00000000A4EC: D3D84023 180001E5
	v_mul_f32_e32 v34, s47, v34                                // 00000000A4F4: 0A44442F
	v_mul_f32_e32 v35, s47, v35                                // 00000000A4F8: 0A46462F
	v_cvt_pk_bf16_f32 v186, v34, v35                           // 00000000A4FC: D26800BA 00024722
	v_accvgpr_read_b32 v34, a230                               // 00000000A504: D3D84022 180001E6
	v_accvgpr_read_b32 v35, a231                               // 00000000A50C: D3D84023 180001E7
	v_mul_f32_e32 v34, s47, v34                                // 00000000A514: 0A44442F
	v_mul_f32_e32 v35, s47, v35                                // 00000000A518: 0A46462F
	v_cvt_pk_bf16_f32 v187, v34, v35                           // 00000000A51C: D26800BB 00024722
	v_accvgpr_read_b32 v34, a232                               // 00000000A524: D3D84022 180001E8
	v_accvgpr_read_b32 v35, a233                               // 00000000A52C: D3D84023 180001E9
	v_mul_f32_e32 v34, s47, v34                                // 00000000A534: 0A44442F
	v_mul_f32_e32 v35, s47, v35                                // 00000000A538: 0A46462F
	v_cvt_pk_bf16_f32 v188, v34, v35                           // 00000000A53C: D26800BC 00024722
	v_accvgpr_read_b32 v34, a234                               // 00000000A544: D3D84022 180001EA
	v_accvgpr_read_b32 v35, a235                               // 00000000A54C: D3D84023 180001EB
	v_mul_f32_e32 v34, s47, v34                                // 00000000A554: 0A44442F
	v_mul_f32_e32 v35, s47, v35                                // 00000000A558: 0A46462F
	v_cvt_pk_bf16_f32 v189, v34, v35                           // 00000000A55C: D26800BD 00024722
	v_accvgpr_read_b32 v34, a236                               // 00000000A564: D3D84022 180001EC
	v_accvgpr_read_b32 v35, a237                               // 00000000A56C: D3D84023 180001ED
	v_mul_f32_e32 v34, s47, v34                                // 00000000A574: 0A44442F
	v_mul_f32_e32 v35, s47, v35                                // 00000000A578: 0A46462F
	v_cvt_pk_bf16_f32 v190, v34, v35                           // 00000000A57C: D26800BE 00024722
	v_accvgpr_read_b32 v34, a238                               // 00000000A584: D3D84022 180001EE
	v_accvgpr_read_b32 v35, a239                               // 00000000A58C: D3D84023 180001EF
	v_mul_f32_e32 v34, s47, v34                                // 00000000A594: 0A44442F
	v_mul_f32_e32 v35, s47, v35                                // 00000000A598: 0A46462F
	v_cvt_pk_bf16_f32 v191, v34, v35                           // 00000000A59C: D26800BF 00024722
	v_accvgpr_read_b32 v34, a240                               // 00000000A5A4: D3D84022 180001F0
	v_accvgpr_read_b32 v35, a241                               // 00000000A5AC: D3D84023 180001F1
	v_mul_f32_e32 v34, s47, v34                                // 00000000A5B4: 0A44442F
	v_mul_f32_e32 v35, s47, v35                                // 00000000A5B8: 0A46462F
	v_cvt_pk_bf16_f32 v192, v34, v35                           // 00000000A5BC: D26800C0 00024722
	v_accvgpr_read_b32 v34, a242                               // 00000000A5C4: D3D84022 180001F2
	v_accvgpr_read_b32 v35, a243                               // 00000000A5CC: D3D84023 180001F3
	v_mul_f32_e32 v34, s47, v34                                // 00000000A5D4: 0A44442F
	v_mul_f32_e32 v35, s47, v35                                // 00000000A5D8: 0A46462F
	v_cvt_pk_bf16_f32 v193, v34, v35                           // 00000000A5DC: D26800C1 00024722
	v_accvgpr_read_b32 v34, a244                               // 00000000A5E4: D3D84022 180001F4
	v_accvgpr_read_b32 v35, a245                               // 00000000A5EC: D3D84023 180001F5
	v_mul_f32_e32 v34, s47, v34                                // 00000000A5F4: 0A44442F
	v_mul_f32_e32 v35, s47, v35                                // 00000000A5F8: 0A46462F
	v_cvt_pk_bf16_f32 v194, v34, v35                           // 00000000A5FC: D26800C2 00024722
	v_accvgpr_read_b32 v34, a246                               // 00000000A604: D3D84022 180001F6
	v_accvgpr_read_b32 v35, a247                               // 00000000A60C: D3D84023 180001F7
	v_mul_f32_e32 v34, s47, v34                                // 00000000A614: 0A44442F
	v_mul_f32_e32 v35, s47, v35                                // 00000000A618: 0A46462F
	v_cvt_pk_bf16_f32 v195, v34, v35                           // 00000000A61C: D26800C3 00024722
	v_accvgpr_read_b32 v34, a248                               // 00000000A624: D3D84022 180001F8
	v_accvgpr_read_b32 v35, a249                               // 00000000A62C: D3D84023 180001F9
	v_mul_f32_e32 v34, s47, v34                                // 00000000A634: 0A44442F
	v_mul_f32_e32 v35, s47, v35                                // 00000000A638: 0A46462F
	v_cvt_pk_bf16_f32 v196, v34, v35                           // 00000000A63C: D26800C4 00024722
	v_accvgpr_read_b32 v34, a250                               // 00000000A644: D3D84022 180001FA
	v_accvgpr_read_b32 v35, a251                               // 00000000A64C: D3D84023 180001FB
	v_mul_f32_e32 v34, s47, v34                                // 00000000A654: 0A44442F
	v_mul_f32_e32 v35, s47, v35                                // 00000000A658: 0A46462F
	v_cvt_pk_bf16_f32 v197, v34, v35                           // 00000000A65C: D26800C5 00024722
	v_accvgpr_read_b32 v34, a252                               // 00000000A664: D3D84022 180001FC
	v_accvgpr_read_b32 v35, a253                               // 00000000A66C: D3D84023 180001FD
	v_mul_f32_e32 v34, s47, v34                                // 00000000A674: 0A44442F
	v_mul_f32_e32 v35, s47, v35                                // 00000000A678: 0A46462F
	v_cvt_pk_bf16_f32 v198, v34, v35                           // 00000000A67C: D26800C6 00024722
	v_accvgpr_read_b32 v34, a254                               // 00000000A684: D3D84022 180001FE
	v_accvgpr_read_b32 v35, a255                               // 00000000A68C: D3D84023 180001FF
	v_mul_f32_e32 v34, s47, v34                                // 00000000A694: 0A44442F
	v_mul_f32_e32 v35, s47, v35                                // 00000000A698: 0A46462F
	v_cvt_pk_bf16_f32 v199, v34, v35                           // 00000000A69C: D26800C7 00024722
	ds_write_b64 v25, v[176:177] offset:52224                  // 00000000A6A4: D89ACC00 0000B019
	ds_write_b64 v25, v[178:179] offset:52800                  // 00000000A6AC: D89ACE40 0000B219
	ds_write_b64 v25, v[180:181] offset:53376                  // 00000000A6B4: D89AD080 0000B419
	ds_write_b64 v25, v[182:183] offset:53952                  // 00000000A6BC: D89AD2C0 0000B619
	ds_write_b64 v25, v[184:185] offset:54528                  // 00000000A6C4: D89AD500 0000B819
	ds_write_b64 v25, v[186:187] offset:55104                  // 00000000A6CC: D89AD740 0000BA19
	ds_write_b64 v25, v[188:189] offset:55680                  // 00000000A6D4: D89AD980 0000BC19
	ds_write_b64 v25, v[190:191] offset:56256                  // 00000000A6DC: D89ADBC0 0000BE19
	ds_write_b64 v25, v[192:193] offset:56832                  // 00000000A6E4: D89ADE00 0000C019
	ds_write_b64 v25, v[194:195] offset:57408                  // 00000000A6EC: D89AE040 0000C219
	ds_write_b64 v25, v[196:197] offset:57984                  // 00000000A6F4: D89AE280 0000C419
	ds_write_b64 v25, v[198:199] offset:58560                  // 00000000A6FC: D89AE4C0 0000C619
	s_waitcnt lgkmcnt(0)                                       // 00000000A704: BF8CC07F
	s_barrier                                                  // 00000000A708: BF8A0000
	ds_read_b64 v[176:177], v23 offset:52224                   // 00000000A70C: D8ECCC00 B0000017
	ds_read_b64 v[178:179], v23 offset:52352                   // 00000000A714: D8ECCC80 B2000017
	ds_read_b64 v[180:181], v23 offset:54528                   // 00000000A71C: D8ECD500 B4000017
	ds_read_b64 v[182:183], v23 offset:54656                   // 00000000A724: D8ECD580 B6000017
	ds_read_b64 v[184:185], v23 offset:56832                   // 00000000A72C: D8ECDE00 B8000017
	ds_read_b64 v[186:187], v23 offset:56960                   // 00000000A734: D8ECDE80 BA000017
	ds_read_b64 v[188:189], v23 offset:52288                   // 00000000A73C: D8ECCC40 BC000017
	ds_read_b64 v[190:191], v23 offset:52416                   // 00000000A744: D8ECCCC0 BE000017
	ds_read_b64 v[192:193], v23 offset:54592                   // 00000000A74C: D8ECD540 C0000017
	ds_read_b64 v[194:195], v23 offset:54720                   // 00000000A754: D8ECD5C0 C2000017
	ds_read_b64 v[196:197], v23 offset:56896                   // 00000000A75C: D8ECDE40 C4000017
	ds_read_b64 v[198:199], v23 offset:57024                   // 00000000A764: D8ECDEC0 C6000017
	s_waitcnt lgkmcnt(0)                                       // 00000000A76C: BF8CC07F
	s_mov_b32 s70, s52                                         // 00000000A770: BEC60034
	buffer_store_dwordx4 v[176:179], v5, s[36:39], 0 offen     // 00000000A774: E07C1000 8009B005
	buffer_store_dwordx4 v[180:183], v5, s[36:39], 0 offen offset:128// 00000000A77C: E07C1080 8009B405
	buffer_store_dwordx4 v[184:187], v5, s[36:39], 0 offen offset:256// 00000000A784: E07C1100 8009B805
	s_mul_i32 s60, 8, s70                                      // 00000000A78C: 923C4688
	v_add_u32_e32 v5, s60, v5                                  // 00000000A790: 680A0A3C
	buffer_store_dwordx4 v[188:191], v5, s[36:39], 0 offen     // 00000000A794: E07C1000 8009BC05
	buffer_store_dwordx4 v[192:195], v5, s[36:39], 0 offen offset:128// 00000000A79C: E07C1080 8009C005
	buffer_store_dwordx4 v[196:199], v5, s[36:39], 0 offen offset:256// 00000000A7A4: E07C1100 8009C405
	s_mul_i32 s60, 8, s70                                      // 00000000A7AC: 923C4688
	v_add_u32_e32 v5, s60, v5                                  // 00000000A7B0: 680A0A3C

000000000000a7b4 <label_1A0B>:
	s_waitcnt vmcnt(0) expcnt(0) lgkmcnt(0)                    // 00000000A7B4: BF8C0000
	s_endpgm                                                   // 00000000A7B8: BF810000
